;; amdgpu-corpus repo=ROCm/rocFFT kind=compiled arch=gfx1030 opt=O3
	.text
	.amdgcn_target "amdgcn-amd-amdhsa--gfx1030"
	.amdhsa_code_object_version 6
	.protected	bluestein_single_fwd_len825_dim1_sp_op_CI_CI ; -- Begin function bluestein_single_fwd_len825_dim1_sp_op_CI_CI
	.globl	bluestein_single_fwd_len825_dim1_sp_op_CI_CI
	.p2align	8
	.type	bluestein_single_fwd_len825_dim1_sp_op_CI_CI,@function
bluestein_single_fwd_len825_dim1_sp_op_CI_CI: ; @bluestein_single_fwd_len825_dim1_sp_op_CI_CI
; %bb.0:
	s_load_dwordx4 s[12:15], s[4:5], 0x28
	v_mul_u32_u24_e32 v1, 0x4a8, v0
	v_mov_b32_e32 v118, 0
	s_mov_b32 s0, exec_lo
	v_lshrrev_b32_e32 v1, 16, v1
	v_add_nc_u32_e32 v117, s6, v1
	s_waitcnt lgkmcnt(0)
	v_cmpx_gt_u64_e64 s[12:13], v[117:118]
	s_cbranch_execz .LBB0_15
; %bb.1:
	s_clause 0x1
	s_load_dwordx4 s[8:11], s[4:5], 0x18
	s_load_dwordx2 s[6:7], s[4:5], 0x0
	v_mul_lo_u16 v1, v1, 55
	v_sub_nc_u16 v33, v0, v1
	v_and_b32_e32 v139, 0xffff, v33
	v_lshlrev_b32_e32 v138, 3, v139
	s_waitcnt lgkmcnt(0)
	s_load_dwordx4 s[0:3], s[8:9], 0x0
	s_clause 0x3
	global_load_dwordx2 v[132:133], v138, s[6:7]
	global_load_dwordx2 v[126:127], v138, s[6:7] offset:600
	global_load_dwordx2 v[128:129], v138, s[6:7] offset:1200
	;; [unrolled: 1-line block ×3, first 2 shown]
	v_add_nc_u32_e32 v12, 0x1000, v138
	s_waitcnt lgkmcnt(0)
	v_mad_u64_u32 v[0:1], null, s2, v117, 0
	v_mad_u64_u32 v[2:3], null, s0, v139, 0
	v_add_co_u32 v109, s2, s6, v138
	v_add_co_ci_u32_e64 v110, null, s7, 0, s2
	s_mul_hi_u32 s6, s0, 0x4b
	v_add_co_u32 v107, vcc_lo, 0x800, v109
	v_mad_u64_u32 v[4:5], null, s3, v117, v[1:2]
	v_add_co_ci_u32_e32 v108, vcc_lo, 0, v110, vcc_lo
	v_add_co_u32 v105, vcc_lo, 0x1000, v109
	v_add_co_ci_u32_e32 v106, vcc_lo, 0, v110, vcc_lo
	v_mad_u64_u32 v[5:6], null, s1, v139, v[3:4]
	v_mov_b32_e32 v1, v4
	s_mul_i32 s3, s1, 0x4b
	s_mul_i32 s2, s0, 0x4b
	s_add_i32 s3, s6, s3
	s_clause 0x3
	global_load_dwordx2 v[130:131], v[107:108], off offset:352
	global_load_dwordx2 v[122:123], v[107:108], off offset:952
	;; [unrolled: 1-line block ×4, first 2 shown]
	v_lshlrev_b64 v[0:1], 3, v[0:1]
	v_mov_b32_e32 v3, v5
	s_lshl_b64 s[6:7], s[2:3], 3
	global_load_dwordx2 v[115:116], v[105:106], off offset:704
	v_lshlrev_b64 v[2:3], 3, v[2:3]
	v_add_co_u32 v0, vcc_lo, s14, v0
	v_add_co_ci_u32_e32 v1, vcc_lo, s15, v1, vcc_lo
	v_add_co_u32 v0, vcc_lo, v0, v2
	v_add_co_ci_u32_e32 v1, vcc_lo, v1, v3, vcc_lo
	;; [unrolled: 2-line block ×3, first 2 shown]
	s_clause 0x1
	global_load_dwordx2 v[8:9], v[0:1], off
	global_load_dwordx2 v[10:11], v[2:3], off
	v_add_co_u32 v4, vcc_lo, v2, s6
	v_add_co_ci_u32_e32 v5, vcc_lo, s7, v3, vcc_lo
	v_add_co_u32 v6, vcc_lo, v4, s6
	v_add_co_ci_u32_e32 v7, vcc_lo, s7, v5, vcc_lo
	;; [unrolled: 2-line block ×3, first 2 shown]
	s_clause 0x1
	global_load_dwordx2 v[13:14], v[4:5], off
	global_load_dwordx2 v[5:6], v[6:7], off
	v_add_co_u32 v2, vcc_lo, v0, s6
	v_add_co_ci_u32_e32 v3, vcc_lo, s7, v1, vcc_lo
	global_load_dwordx2 v[15:16], v[0:1], off
	v_add_co_u32 v0, vcc_lo, v2, s6
	v_add_co_ci_u32_e32 v1, vcc_lo, s7, v3, vcc_lo
	;; [unrolled: 3-line block ×6, first 2 shown]
	global_load_dwordx2 v[25:26], v[2:3], off
	s_clause 0x1
	global_load_dwordx2 v[118:119], v[105:106], off offset:1304
	global_load_dwordx2 v[120:121], v[105:106], off offset:1904
	global_load_dwordx2 v[27:28], v[0:1], off
	s_load_dwordx2 s[2:3], s[4:5], 0x38
	s_load_dwordx4 s[8:11], s[10:11], 0x0
	v_add_nc_u32_e32 v2, 0x800, v138
	v_add_nc_u32_e32 v4, 0xc00, v138
	v_cmp_gt_u16_e32 vcc_lo, 20, v33
	s_waitcnt vmcnt(12)
	v_mul_f32_e32 v7, v9, v133
	v_mul_f32_e32 v3, v8, v133
	s_waitcnt vmcnt(11)
	v_mul_f32_e32 v29, v11, v127
	v_fmac_f32_e32 v7, v8, v132
	v_fma_f32 v8, v9, v132, -v3
	v_mul_f32_e32 v3, v10, v127
	v_fmac_f32_e32 v29, v10, v126
	v_fma_f32 v30, v11, v126, -v3
	s_waitcnt vmcnt(10)
	v_mul_f32_e32 v9, v14, v129
	v_mul_f32_e32 v10, v13, v129
	s_waitcnt vmcnt(9)
	v_mul_f32_e32 v31, v6, v125
	v_mul_f32_e32 v32, v5, v125
	ds_write2_b64 v138, v[7:8], v[29:30] offset1:75
	v_fmac_f32_e32 v9, v13, v128
	s_waitcnt vmcnt(8)
	v_mul_f32_e32 v3, v15, v131
	v_fma_f32 v10, v14, v128, -v10
	v_fmac_f32_e32 v31, v5, v124
	v_fma_f32 v32, v6, v124, -v32
	v_mul_f32_e32 v5, v16, v131
	s_waitcnt vmcnt(7)
	v_mul_f32_e32 v7, v18, v123
	v_fma_f32 v6, v16, v130, -v3
	v_mul_f32_e32 v8, v17, v123
	ds_write2_b64 v138, v[9:10], v[31:32] offset0:150 offset1:225
	v_fmac_f32_e32 v5, v15, v130
	s_waitcnt vmcnt(6)
	v_mul_f32_e32 v3, v19, v112
	v_mul_f32_e32 v9, v20, v112
	v_fmac_f32_e32 v7, v17, v122
	v_fma_f32 v8, v18, v122, -v8
	s_waitcnt vmcnt(5)
	v_mul_f32_e32 v11, v21, v114
	v_mul_f32_e32 v13, v22, v114
	v_fma_f32 v10, v20, v111, -v3
	v_fmac_f32_e32 v9, v19, v111
	s_waitcnt vmcnt(4)
	v_mul_f32_e32 v15, v24, v116
	v_fma_f32 v14, v22, v113, -v11
	v_mul_f32_e32 v3, v23, v116
	s_waitcnt vmcnt(2)
	v_mul_f32_e32 v17, v26, v119
	v_mul_f32_e32 v11, v25, v119
	s_waitcnt vmcnt(0)
	v_mul_f32_e32 v19, v28, v121
	v_mul_f32_e32 v20, v27, v121
	v_fmac_f32_e32 v13, v21, v113
	v_fmac_f32_e32 v15, v23, v115
	v_fma_f32 v16, v24, v115, -v3
	v_fmac_f32_e32 v17, v25, v118
	v_fma_f32 v18, v26, v118, -v11
	;; [unrolled: 2-line block ×3, first 2 shown]
	ds_write2_b64 v2, v[5:6], v[7:8] offset0:44 offset1:119
	ds_write2_b64 v4, v[9:10], v[13:14] offset0:66 offset1:141
	;; [unrolled: 1-line block ×3, first 2 shown]
	ds_write_b64 v138, v[19:20] offset:6000
	s_and_saveexec_b32 s12, vcc_lo
	s_cbranch_execz .LBB0_3
; %bb.2:
	v_mad_u64_u32 v[0:1], null, 0xffffea48, s0, v[0:1]
	s_mulk_i32 s1, 0xea48
	s_clause 0x2
	global_load_dwordx2 v[9:10], v[109:110], off offset:440
	global_load_dwordx2 v[13:14], v[109:110], off offset:1040
	;; [unrolled: 1-line block ×3, first 2 shown]
	s_sub_i32 s0, s1, s0
	s_clause 0x2
	global_load_dwordx2 v[19:20], v[107:108], off offset:192
	global_load_dwordx2 v[21:22], v[107:108], off offset:792
	;; [unrolled: 1-line block ×3, first 2 shown]
	v_add_nc_u32_e32 v1, s0, v1
	v_add_co_u32 v5, s0, v0, s6
	v_add_co_ci_u32_e64 v6, s0, s7, v1, s0
	v_add_co_u32 v7, s0, v5, s6
	global_load_dwordx2 v[0:1], v[0:1], off
	v_add_co_ci_u32_e64 v8, s0, s7, v6, s0
	v_add_co_u32 v17, s0, v7, s6
	global_load_dwordx2 v[5:6], v[5:6], off
	v_add_co_ci_u32_e64 v18, s0, s7, v8, s0
	v_add_co_u32 v25, s0, v17, s6
	global_load_dwordx2 v[7:8], v[7:8], off
	v_add_co_ci_u32_e64 v26, s0, s7, v18, s0
	v_add_co_u32 v27, s0, v25, s6
	global_load_dwordx2 v[17:18], v[17:18], off
	v_add_co_ci_u32_e64 v28, s0, s7, v26, s0
	v_add_co_u32 v29, s0, v27, s6
	v_add_co_ci_u32_e64 v30, s0, s7, v28, s0
	v_add_co_u32 v31, s0, v29, s6
	;; [unrolled: 2-line block ×3, first 2 shown]
	v_add_co_ci_u32_e64 v34, s0, s7, v32, s0
	global_load_dwordx2 v[25:26], v[25:26], off
	global_load_dwordx2 v[27:28], v[27:28], off
	;; [unrolled: 1-line block ×5, first 2 shown]
	s_clause 0x2
	global_load_dwordx2 v[37:38], v[107:108], off offset:1992
	global_load_dwordx2 v[39:40], v[105:106], off offset:544
	;; [unrolled: 1-line block ×3, first 2 shown]
	v_add_co_u32 v33, s0, v33, s6
	v_add_co_ci_u32_e64 v34, s0, s7, v34, s0
	v_add_co_u32 v43, s0, 0x1800, v109
	v_add_co_ci_u32_e64 v44, s0, 0, v110, s0
	;; [unrolled: 2-line block ×3, first 2 shown]
	global_load_dwordx2 v[33:34], v[33:34], off
	s_clause 0x1
	global_load_dwordx2 v[47:48], v[105:106], off offset:1744
	global_load_dwordx2 v[43:44], v[43:44], off offset:296
	global_load_dwordx2 v[45:46], v[45:46], off
	s_waitcnt vmcnt(15)
	v_mul_f32_e32 v49, v1, v10
	v_mul_f32_e32 v3, v0, v10
	s_waitcnt vmcnt(14)
	v_mul_f32_e32 v10, v6, v14
	v_mul_f32_e32 v11, v5, v14
	v_fmac_f32_e32 v49, v0, v9
	v_fma_f32 v50, v1, v9, -v3
	v_add_nc_u32_e32 v3, 0x400, v138
	v_fmac_f32_e32 v10, v5, v13
	v_fma_f32 v11, v6, v13, -v11
	s_waitcnt vmcnt(13)
	v_mul_f32_e32 v0, v8, v16
	v_mul_f32_e32 v1, v7, v16
	s_waitcnt vmcnt(12)
	v_mul_f32_e32 v5, v18, v20
	ds_write2_b64 v138, v[49:50], v[10:11] offset0:55 offset1:130
	v_mul_f32_e32 v6, v17, v20
	v_fmac_f32_e32 v0, v7, v15
	v_fma_f32 v1, v8, v15, -v1
	v_fmac_f32_e32 v5, v17, v19
	v_fma_f32 v6, v18, v19, -v6
	s_waitcnt vmcnt(11)
	v_mul_f32_e32 v7, v26, v22
	v_mul_f32_e32 v8, v25, v22
	s_waitcnt vmcnt(10)
	v_mul_f32_e32 v9, v28, v24
	v_mul_f32_e32 v10, v27, v24
	s_waitcnt vmcnt(6)
	v_mul_f32_e32 v11, v29, v38
	v_mul_f32_e32 v13, v30, v38
	s_waitcnt vmcnt(5)
	v_mul_f32_e32 v15, v32, v40
	v_mul_f32_e32 v16, v31, v40
	s_waitcnt vmcnt(4)
	v_mul_f32_e32 v17, v36, v42
	v_fma_f32 v14, v30, v37, -v11
	v_mul_f32_e32 v11, v35, v42
	v_fmac_f32_e32 v7, v25, v21
	v_fma_f32 v8, v26, v21, -v8
	v_fmac_f32_e32 v9, v27, v23
	v_fma_f32 v10, v28, v23, -v10
	v_fmac_f32_e32 v13, v29, v37
	v_fmac_f32_e32 v15, v31, v39
	s_waitcnt vmcnt(2)
	v_mul_f32_e32 v19, v34, v48
	v_mul_f32_e32 v20, v33, v48
	s_waitcnt vmcnt(0)
	v_mul_f32_e32 v21, v46, v44
	v_mul_f32_e32 v22, v45, v44
	v_fma_f32 v16, v32, v39, -v16
	v_fmac_f32_e32 v17, v35, v41
	v_fma_f32 v18, v36, v41, -v11
	v_fmac_f32_e32 v19, v33, v47
	;; [unrolled: 2-line block ×3, first 2 shown]
	v_fma_f32 v22, v46, v43, -v22
	ds_write2_b64 v3, v[0:1], v[5:6] offset0:77 offset1:152
	ds_write2_b64 v2, v[7:8], v[9:10] offset0:99 offset1:174
	;; [unrolled: 1-line block ×4, first 2 shown]
	ds_write_b64 v138, v[21:22] offset:6440
.LBB0_3:
	s_or_b32 exec_lo, exec_lo, s12
	s_waitcnt lgkmcnt(0)
	s_barrier
	buffer_gl0_inv
	ds_read2_b64 v[36:39], v138 offset1:75
	ds_read2_b64 v[8:11], v138 offset0:150 offset1:225
	ds_read2_b64 v[0:3], v2 offset0:44 offset1:119
	ds_read2_b64 v[4:7], v4 offset0:66 offset1:141
	ds_read2_b64 v[32:35], v12 offset0:88 offset1:163
	ds_read_b64 v[42:43], v138 offset:6000
	s_load_dwordx2 s[4:5], s[4:5], 0x8
	v_mov_b32_e32 v20, 0
	v_mov_b32_e32 v21, 0
                                        ; implicit-def: $vgpr16
                                        ; implicit-def: $vgpr12
                                        ; implicit-def: $vgpr40
                                        ; implicit-def: $vgpr26
                                        ; implicit-def: $vgpr30
	s_and_saveexec_b32 s0, vcc_lo
	s_cbranch_execz .LBB0_5
; %bb.4:
	v_add_nc_u32_e32 v12, 0x400, v138
	v_add_nc_u32_e32 v13, 0x800, v138
	;; [unrolled: 1-line block ×4, first 2 shown]
	ds_read2_b64 v[20:23], v138 offset0:55 offset1:130
	ds_read2_b64 v[28:31], v12 offset0:77 offset1:152
	;; [unrolled: 1-line block ×5, first 2 shown]
	ds_read_b64 v[40:41], v138 offset:6440
.LBB0_5:
	s_or_b32 exec_lo, exec_lo, s0
	s_waitcnt lgkmcnt(0)
	v_add_f32_e32 v44, v36, v38
	v_add_f32_e32 v45, v37, v39
	v_sub_f32_e32 v47, v39, v43
	v_add_f32_e32 v49, v43, v39
	v_add_f32_e32 v46, v42, v38
	;; [unrolled: 1-line block ×4, first 2 shown]
	v_sub_f32_e32 v48, v38, v42
	v_mul_f32_e32 v38, 0xbf0a6770, v47
	v_mul_f32_e32 v50, 0xbf68dda4, v47
	v_add_f32_e32 v39, v44, v10
	v_add_f32_e32 v44, v45, v11
	v_mul_f32_e32 v51, 0xbf68dda4, v48
	v_mul_f32_e32 v52, 0xbf7d64f0, v47
	v_fma_f32 v54, 0x3f575c64, v46, -v38
	v_add_f32_e32 v39, v39, v0
	v_add_f32_e32 v44, v44, v1
	v_fmac_f32_e32 v38, 0x3f575c64, v46
	v_fma_f32 v56, 0x3ed4b147, v46, -v50
	v_fmamk_f32 v57, v49, 0x3ed4b147, v51
	v_add_f32_e32 v39, v39, v2
	v_add_f32_e32 v44, v44, v3
	v_fma_f32 v58, 0xbe11bafb, v46, -v52
	v_add_f32_e32 v59, v36, v38
	v_mul_f32_e32 v45, 0xbf0a6770, v48
	v_add_f32_e32 v39, v39, v4
	v_add_f32_e32 v44, v44, v5
	v_mul_f32_e32 v53, 0xbf7d64f0, v48
	v_fma_f32 v51, 0x3ed4b147, v49, -v51
	v_sub_f32_e32 v63, v9, v35
	v_add_f32_e32 v39, v39, v6
	v_add_f32_e32 v44, v44, v7
	;; [unrolled: 1-line block ×3, first 2 shown]
	v_sub_f32_e32 v8, v8, v34
	v_fmamk_f32 v55, v49, 0x3f575c64, v45
	v_add_f32_e32 v39, v39, v32
	v_add_f32_e32 v44, v44, v33
	v_fma_f32 v45, 0x3f575c64, v49, -v45
	v_fmac_f32_e32 v50, 0x3ed4b147, v46
	v_fmac_f32_e32 v52, 0xbe11bafb, v46
	v_add_f32_e32 v38, v39, v34
	v_add_f32_e32 v39, v44, v35
	;; [unrolled: 1-line block ×4, first 2 shown]
	v_mul_f32_e32 v57, 0xbf4178ce, v47
	v_mul_f32_e32 v47, 0xbe903f40, v47
	v_add_f32_e32 v39, v39, v43
	v_add_f32_e32 v43, v36, v58
	v_mul_f32_e32 v58, 0xbf4178ce, v48
	v_mul_f32_e32 v48, 0xbe903f40, v48
	v_add_f32_e32 v38, v38, v42
	v_add_f32_e32 v42, v37, v51
	v_fmamk_f32 v51, v49, 0xbe11bafb, v53
	v_fma_f32 v53, 0xbe11bafb, v49, -v53
	v_fma_f32 v60, 0xbf27a4f4, v46, -v57
	v_fmamk_f32 v61, v49, 0xbf27a4f4, v58
	v_fmac_f32_e32 v57, 0xbf27a4f4, v46
	v_fma_f32 v58, 0xbf27a4f4, v49, -v58
	v_fma_f32 v62, 0xbf75a155, v46, -v47
	v_fmamk_f32 v64, v49, 0xbf75a155, v48
	v_mul_f32_e32 v66, 0xbf68dda4, v63
	v_fmac_f32_e32 v47, 0xbf75a155, v46
	v_fma_f32 v34, 0xbf75a155, v49, -v48
	v_add_f32_e32 v9, v35, v9
	v_mul_f32_e32 v46, 0xbf68dda4, v8
	v_add_f32_e32 v54, v36, v54
	v_add_f32_e32 v55, v37, v55
	;; [unrolled: 1-line block ×12, first 2 shown]
	v_fma_f32 v35, 0x3ed4b147, v65, -v66
	v_add_f32_e32 v48, v37, v64
	v_add_f32_e32 v36, v36, v47
	;; [unrolled: 1-line block ×3, first 2 shown]
	v_fmamk_f32 v37, v9, 0x3ed4b147, v46
	v_mul_f32_e32 v47, 0xbf4178ce, v63
	v_fmac_f32_e32 v66, 0x3ed4b147, v65
	v_fma_f32 v46, 0x3ed4b147, v9, -v46
	v_mul_f32_e32 v49, 0xbf4178ce, v8
	v_add_f32_e32 v35, v35, v54
	v_add_f32_e32 v37, v37, v55
	v_fma_f32 v54, 0xbf27a4f4, v65, -v47
	v_add_f32_e32 v55, v66, v59
	v_add_f32_e32 v45, v46, v45
	v_fmamk_f32 v46, v9, 0xbf27a4f4, v49
	v_mul_f32_e32 v59, 0x3e903f40, v63
	v_fma_f32 v49, 0xbf27a4f4, v9, -v49
	v_add_f32_e32 v44, v54, v44
	v_fmac_f32_e32 v47, 0xbf27a4f4, v65
	v_add_f32_e32 v46, v46, v56
	v_fma_f32 v54, 0xbf75a155, v65, -v59
	v_mul_f32_e32 v56, 0x3e903f40, v8
	v_add_f32_e32 v42, v49, v42
	v_mul_f32_e32 v49, 0x3f7d64f0, v63
	v_add_f32_e32 v47, v47, v50
	v_add_f32_e32 v43, v54, v43
	v_fmamk_f32 v50, v9, 0xbf75a155, v56
	v_fmac_f32_e32 v59, 0xbf75a155, v65
	v_fma_f32 v54, 0xbf75a155, v9, -v56
	v_fma_f32 v56, 0xbe11bafb, v65, -v49
	v_mul_f32_e32 v64, 0x3f7d64f0, v8
	v_add_f32_e32 v50, v50, v51
	v_add_f32_e32 v51, v59, v52
	;; [unrolled: 1-line block ×4, first 2 shown]
	v_mul_f32_e32 v56, 0x3f0a6770, v63
	v_fmac_f32_e32 v49, 0xbe11bafb, v65
	v_fma_f32 v59, 0xbe11bafb, v9, -v64
	v_fmamk_f32 v54, v9, 0xbe11bafb, v64
	v_mul_f32_e32 v8, 0x3f0a6770, v8
	v_fma_f32 v60, 0x3f575c64, v65, -v56
	v_add_f32_e32 v49, v49, v57
	v_add_f32_e32 v57, v59, v58
	;; [unrolled: 1-line block ×3, first 2 shown]
	v_fmamk_f32 v61, v9, 0x3f575c64, v8
	v_add_f32_e32 v59, v60, v62
	v_add_f32_e32 v60, v32, v10
	v_sub_f32_e32 v10, v10, v32
	v_sub_f32_e32 v58, v11, v33
	v_fmac_f32_e32 v56, 0x3f575c64, v65
	v_fma_f32 v8, 0x3f575c64, v9, -v8
	v_add_f32_e32 v9, v33, v11
	v_mul_f32_e32 v11, 0xbf7d64f0, v10
	v_mul_f32_e32 v32, 0xbf7d64f0, v58
	v_add_f32_e32 v36, v56, v36
	v_add_f32_e32 v8, v8, v34
	v_mul_f32_e32 v34, 0x3e903f40, v58
	v_fmamk_f32 v56, v9, 0xbe11bafb, v11
	v_fma_f32 v33, 0xbe11bafb, v60, -v32
	v_fmac_f32_e32 v32, 0xbe11bafb, v60
	v_fma_f32 v11, 0xbe11bafb, v9, -v11
	v_add_f32_e32 v48, v61, v48
	v_add_f32_e32 v37, v56, v37
	v_mul_f32_e32 v56, 0x3e903f40, v10
	v_add_f32_e32 v33, v33, v35
	v_fma_f32 v35, 0xbf75a155, v60, -v34
	v_add_f32_e32 v32, v32, v55
	v_add_f32_e32 v11, v11, v45
	v_fmamk_f32 v45, v9, 0xbf75a155, v56
	v_fma_f32 v55, 0xbf75a155, v9, -v56
	v_mul_f32_e32 v56, 0x3f68dda4, v10
	v_add_f32_e32 v35, v35, v44
	v_mul_f32_e32 v44, 0x3f68dda4, v58
	v_fmac_f32_e32 v34, 0xbf75a155, v60
	v_add_f32_e32 v45, v45, v46
	v_fmamk_f32 v46, v9, 0x3ed4b147, v56
	v_add_f32_e32 v42, v55, v42
	v_fma_f32 v61, 0x3ed4b147, v60, -v44
	v_add_f32_e32 v34, v34, v47
	v_mul_f32_e32 v47, 0xbf0a6770, v58
	v_fmac_f32_e32 v44, 0x3ed4b147, v60
	v_fma_f32 v55, 0x3ed4b147, v9, -v56
	v_add_f32_e32 v46, v46, v50
	v_mul_f32_e32 v50, 0xbf0a6770, v10
	v_fma_f32 v56, 0x3f575c64, v60, -v47
	v_add_f32_e32 v44, v44, v51
	v_add_f32_e32 v51, v55, v52
	v_mul_f32_e32 v52, 0xbf4178ce, v58
	v_fmamk_f32 v55, v9, 0x3f575c64, v50
	v_fmac_f32_e32 v47, 0x3f575c64, v60
	v_fma_f32 v50, 0x3f575c64, v9, -v50
	v_add_f32_e32 v53, v56, v53
	v_fma_f32 v56, 0xbf27a4f4, v60, -v52
	v_add_f32_e32 v54, v55, v54
	v_mul_f32_e32 v10, 0xbf4178ce, v10
	v_add_f32_e32 v47, v47, v49
	v_add_f32_e32 v49, v50, v57
	v_sub_f32_e32 v55, v1, v7
	v_sub_f32_e32 v57, v0, v6
	v_add_f32_e32 v50, v56, v59
	v_fmamk_f32 v56, v9, 0xbf27a4f4, v10
	v_fmac_f32_e32 v52, 0xbf27a4f4, v60
	v_add_f32_e32 v0, v6, v0
	v_mul_f32_e32 v6, 0xbf4178ce, v55
	v_fma_f32 v9, 0xbf27a4f4, v9, -v10
	v_add_f32_e32 v1, v7, v1
	v_mul_f32_e32 v7, 0xbf4178ce, v57
	v_add_f32_e32 v10, v56, v48
	v_fma_f32 v48, 0xbf27a4f4, v0, -v6
	v_add_f32_e32 v36, v52, v36
	v_add_f32_e32 v8, v9, v8
	v_fmamk_f32 v9, v1, 0xbf27a4f4, v7
	v_mul_f32_e32 v52, 0x3f7d64f0, v55
	v_fma_f32 v7, 0xbf27a4f4, v1, -v7
	v_add_f32_e32 v33, v48, v33
	v_fmac_f32_e32 v6, 0xbf27a4f4, v0
	v_add_f32_e32 v9, v9, v37
	v_fma_f32 v37, 0xbe11bafb, v0, -v52
	v_mul_f32_e32 v48, 0x3f7d64f0, v57
	v_add_f32_e32 v7, v7, v11
	v_mul_f32_e32 v11, 0xbf0a6770, v55
	v_add_f32_e32 v43, v61, v43
	v_add_f32_e32 v6, v6, v32
	;; [unrolled: 1-line block ×3, first 2 shown]
	v_fmamk_f32 v32, v1, 0xbe11bafb, v48
	v_fmac_f32_e32 v52, 0xbe11bafb, v0
	v_fma_f32 v37, 0xbe11bafb, v1, -v48
	v_fma_f32 v48, 0x3f575c64, v0, -v11
	v_mul_f32_e32 v56, 0xbf0a6770, v57
	v_add_f32_e32 v45, v32, v45
	v_add_f32_e32 v34, v52, v34
	;; [unrolled: 1-line block ×4, first 2 shown]
	v_fmamk_f32 v32, v1, 0x3f575c64, v56
	v_mul_f32_e32 v43, 0xbe903f40, v55
	v_fmac_f32_e32 v11, 0x3f575c64, v0
	v_fma_f32 v48, 0x3f575c64, v1, -v56
	v_mul_f32_e32 v52, 0xbe903f40, v57
	v_add_f32_e32 v46, v32, v46
	v_fma_f32 v32, 0xbf75a155, v0, -v43
	v_add_f32_e32 v11, v11, v44
	v_add_f32_e32 v44, v48, v51
	v_fmamk_f32 v48, v1, 0xbf75a155, v52
	v_mul_f32_e32 v51, 0x3f68dda4, v55
	v_fmac_f32_e32 v43, 0xbf75a155, v0
	v_add_f32_e32 v53, v32, v53
	v_fma_f32 v32, 0xbf75a155, v1, -v52
	v_add_f32_e32 v48, v48, v54
	v_fma_f32 v52, 0x3ed4b147, v0, -v51
	v_mul_f32_e32 v54, 0x3f68dda4, v57
	v_add_f32_e32 v47, v43, v47
	v_sub_f32_e32 v43, v3, v5
	v_sub_f32_e32 v55, v2, v4
	v_add_f32_e32 v49, v32, v49
	v_add_f32_e32 v50, v52, v50
	v_fmamk_f32 v32, v1, 0x3ed4b147, v54
	v_add_f32_e32 v52, v4, v2
	v_mul_f32_e32 v2, 0xbe903f40, v43
	v_fmac_f32_e32 v51, 0x3ed4b147, v0
	v_fma_f32 v0, 0x3ed4b147, v1, -v54
	v_add_f32_e32 v54, v5, v3
	v_mul_f32_e32 v1, 0xbe903f40, v55
	v_fma_f32 v3, 0xbf75a155, v52, -v2
	v_mul_f32_e32 v5, 0x3f0a6770, v43
	v_add_f32_e32 v8, v0, v8
	v_fmac_f32_e32 v2, 0xbf75a155, v52
	v_fmamk_f32 v4, v54, 0xbf75a155, v1
	v_add_f32_e32 v0, v3, v33
	v_fma_f32 v3, 0xbf75a155, v54, -v1
	v_add_f32_e32 v10, v32, v10
	v_add_f32_e32 v32, v2, v6
	;; [unrolled: 1-line block ×3, first 2 shown]
	v_mul_f32_e32 v4, 0x3f0a6770, v55
	v_fma_f32 v9, 0x3f575c64, v52, -v5
	v_add_f32_e32 v33, v3, v7
	v_mul_f32_e32 v6, 0xbf4178ce, v43
	v_fmac_f32_e32 v5, 0x3f575c64, v52
	v_fmamk_f32 v3, v54, 0x3f575c64, v4
	v_add_f32_e32 v2, v9, v35
	v_fma_f32 v4, 0x3f575c64, v54, -v4
	v_fma_f32 v7, 0xbf27a4f4, v52, -v6
	v_mul_f32_e32 v9, 0xbf4178ce, v55
	v_add_f32_e32 v3, v3, v45
	v_fmac_f32_e32 v6, 0xbf27a4f4, v52
	v_mul_f32_e32 v45, 0x3f68dda4, v55
	v_add_f32_e32 v51, v51, v36
	v_add_f32_e32 v34, v5, v34
	;; [unrolled: 1-line block ×4, first 2 shown]
	v_mul_f32_e32 v7, 0x3f68dda4, v43
	v_fmamk_f32 v5, v54, 0xbf27a4f4, v9
	v_fma_f32 v9, 0xbf27a4f4, v54, -v9
	v_add_f32_e32 v36, v6, v11
	v_fmamk_f32 v6, v54, 0x3ed4b147, v45
	v_fma_f32 v42, 0x3ed4b147, v52, -v7
	v_mul_f32_e32 v11, 0xbf7d64f0, v55
	v_add_f32_e32 v37, v9, v44
	v_mul_f32_e32 v9, 0xbf7d64f0, v43
	v_add_f32_e32 v43, v6, v48
	v_fmac_f32_e32 v7, 0x3ed4b147, v52
	v_fma_f32 v6, 0x3ed4b147, v54, -v45
	v_add_f32_e32 v5, v5, v46
	v_fma_f32 v46, 0xbe11bafb, v52, -v9
	v_fmamk_f32 v48, v54, 0xbe11bafb, v11
	v_fmac_f32_e32 v9, 0xbe11bafb, v52
	v_add_f32_e32 v44, v7, v47
	v_add_f32_e32 v45, v6, v49
	v_sub_f32_e32 v6, v23, v41
	v_sub_f32_e32 v7, v22, v40
	v_add_f32_e32 v42, v42, v53
	v_add_f32_e32 v47, v48, v10
	v_add_f32_e32 v48, v9, v51
	v_fma_f32 v9, 0xbe11bafb, v54, -v11
	v_add_f32_e32 v63, v40, v22
	v_add_f32_e32 v64, v41, v23
	v_mul_f32_e32 v51, 0xbf0a6770, v7
	v_mul_f32_e32 v56, 0xbf68dda4, v6
	v_mul_f32_e32 v57, 0xbf68dda4, v7
	v_mul_f32_e32 v62, 0xbf7d64f0, v7
	v_sub_f32_e32 v53, v29, v15
	v_sub_f32_e32 v90, v28, v14
	v_add_f32_e32 v46, v46, v50
	v_mul_f32_e32 v50, 0xbf0a6770, v6
	v_add_f32_e32 v49, v9, v8
	v_fma_f32 v9, 0x3f575c64, v64, -v51
	v_fmamk_f32 v10, v63, 0x3ed4b147, v56
	v_mul_f32_e32 v60, 0xbf7d64f0, v6
	v_fma_f32 v11, 0x3ed4b147, v64, -v57
	v_add_f32_e32 v72, v14, v28
	v_add_f32_e32 v73, v15, v29
	v_mul_f32_e32 v55, 0xbf68dda4, v90
	v_mul_f32_e32 v61, 0xbf4178ce, v53
	v_fma_f32 v58, 0xbe11bafb, v64, -v62
	v_mul_f32_e32 v65, 0xbf4178ce, v90
	v_fmamk_f32 v8, v63, 0x3f575c64, v50
	v_add_f32_e32 v9, v9, v21
	v_add_f32_e32 v10, v10, v20
	v_fmamk_f32 v52, v63, 0xbe11bafb, v60
	v_add_f32_e32 v11, v11, v21
	v_mul_f32_e32 v54, 0xbf68dda4, v53
	v_fma_f32 v66, 0x3ed4b147, v73, -v55
	v_fmamk_f32 v67, v72, 0xbf27a4f4, v61
	v_add_f32_e32 v71, v58, v21
	v_fma_f32 v58, 0xbf27a4f4, v73, -v65
	v_mul_f32_e32 v68, 0x3e903f40, v53
	v_mul_f32_e32 v70, 0x3e903f40, v90
	v_sub_f32_e32 v91, v31, v13
	v_add_f32_e32 v8, v8, v20
	v_add_f32_e32 v52, v52, v20
	v_fmamk_f32 v59, v72, 0x3ed4b147, v54
	v_add_f32_e32 v9, v66, v9
	v_add_f32_e32 v10, v67, v10
	;; [unrolled: 1-line block ×3, first 2 shown]
	v_sub_f32_e32 v92, v30, v12
	v_fmamk_f32 v66, v72, 0xbf75a155, v68
	v_add_f32_e32 v76, v12, v30
	v_mul_f32_e32 v58, 0xbf7d64f0, v91
	v_fma_f32 v67, 0xbf75a155, v73, -v70
	v_mul_f32_e32 v69, 0x3e903f40, v91
	v_mul_f32_e32 v78, 0x3f68dda4, v91
	v_add_f32_e32 v8, v59, v8
	v_add_f32_e32 v77, v13, v31
	v_mul_f32_e32 v59, 0xbf7d64f0, v92
	v_add_f32_e32 v52, v66, v52
	v_fmamk_f32 v66, v76, 0xbe11bafb, v58
	v_add_f32_e32 v89, v67, v71
	v_fmamk_f32 v67, v76, 0xbf75a155, v69
	v_mul_f32_e32 v71, 0x3e903f40, v92
	v_sub_f32_e32 v93, v25, v19
	v_sub_f32_e32 v94, v24, v18
	v_fmamk_f32 v79, v76, 0x3ed4b147, v78
	v_fma_f32 v74, 0xbe11bafb, v77, -v59
	v_add_f32_e32 v8, v66, v8
	v_add_f32_e32 v10, v67, v10
	v_fma_f32 v67, 0xbf75a155, v77, -v71
	v_add_f32_e32 v81, v18, v24
	v_mul_f32_e32 v66, 0xbf4178ce, v93
	v_add_f32_e32 v82, v19, v25
	v_mul_f32_e32 v75, 0x3f7d64f0, v94
	v_add_f32_e32 v83, v79, v52
	v_mul_lo_u16 v87, v139, 11
	v_mov_b32_e32 v52, 3
	v_add_f32_e32 v9, v74, v9
	v_add_f32_e32 v11, v67, v11
	v_fmamk_f32 v80, v81, 0xbf27a4f4, v66
	v_mul_f32_e32 v67, 0xbf4178ce, v94
	v_mul_f32_e32 v74, 0x3f7d64f0, v93
	;; [unrolled: 1-line block ×3, first 2 shown]
	v_fma_f32 v85, 0xbe11bafb, v82, -v75
	v_lshlrev_b32_sdwa v144, v52, v87 dst_sel:DWORD dst_unused:UNUSED_PAD src0_sel:DWORD src1_sel:WORD_0
	v_sub_f32_e32 v96, v27, v17
	v_add_f32_e32 v8, v80, v8
	v_fma_f32 v80, 0xbf27a4f4, v82, -v67
	v_fmamk_f32 v84, v81, 0xbe11bafb, v74
	v_fmamk_f32 v86, v81, 0x3f575c64, v79
	v_add_f32_e32 v11, v85, v11
	s_barrier
	buffer_gl0_inv
	v_sub_f32_e32 v97, v26, v16
	ds_write2_b64 v144, v[38:39], v[0:1] offset1:1
	v_add_f32_e32 v85, v16, v26
	v_mul_f32_e32 v38, 0xbe903f40, v96
	v_add_f32_e32 v9, v80, v9
	v_add_f32_e32 v10, v84, v10
	;; [unrolled: 1-line block ×4, first 2 shown]
	v_mul_f32_e32 v80, 0xbe903f40, v97
	v_mul_f32_e32 v39, 0x3f0a6770, v96
	;; [unrolled: 1-line block ×3, first 2 shown]
	v_fmamk_f32 v0, v85, 0xbf75a155, v38
	v_mul_f32_e32 v87, 0x3f68dda4, v92
	ds_write2_b64 v144, v[2:3], v[4:5] offset0:2 offset1:3
	v_fma_f32 v1, 0xbf75a155, v84, -v80
	v_fmamk_f32 v2, v85, 0x3f575c64, v39
	v_fma_f32 v3, 0x3f575c64, v84, -v83
	v_mul_f32_e32 v86, 0xbf4178ce, v96
	v_add_f32_e32 v136, v0, v8
	v_fma_f32 v0, 0x3ed4b147, v77, -v87
	v_mul_f32_e32 v88, 0xbf0a6770, v94
	v_mul_f32_e32 v4, 0xbf4178ce, v6
	v_add_f32_e32 v137, v1, v9
	v_add_f32_e32 v2, v2, v10
	;; [unrolled: 1-line block ×3, first 2 shown]
	v_fmamk_f32 v1, v85, 0xbf27a4f4, v86
	v_add_f32_e32 v5, v0, v89
	v_fma_f32 v8, 0x3f575c64, v82, -v88
	v_fma_f32 v9, 0xbf27a4f4, v63, -v4
	v_mul_f32_e32 v10, 0x3f7d64f0, v53
	v_mul_f32_e32 v11, 0xbf4178ce, v7
	v_add_f32_e32 v0, v1, v95
	v_add_f32_e32 v1, v8, v5
	;; [unrolled: 1-line block ×3, first 2 shown]
	v_fma_f32 v8, 0xbe11bafb, v72, -v10
	v_fmamk_f32 v9, v64, 0xbf27a4f4, v11
	v_mul_f32_e32 v95, 0x3f7d64f0, v90
	v_mul_f32_e32 v89, 0xbf4178ce, v97
	;; [unrolled: 1-line block ×3, first 2 shown]
	v_add_f32_e32 v5, v8, v5
	v_add_f32_e32 v8, v9, v21
	v_fmamk_f32 v9, v73, 0xbe11bafb, v95
	v_mul_f32_e32 v98, 0xbf0a6770, v91
	v_fma_f32 v102, 0xbf27a4f4, v84, -v89
	v_mul_f32_e32 v101, 0xbe903f40, v93
	v_fmac_f32_e32 v4, 0xbf27a4f4, v63
	v_add_f32_e32 v8, v9, v8
	v_fmamk_f32 v9, v77, 0x3f575c64, v99
	v_fma_f32 v100, 0x3f575c64, v76, -v98
	v_add_f32_e32 v1, v102, v1
	v_mul_f32_e32 v102, 0xbe903f40, v94
	v_add_f32_e32 v4, v4, v20
	v_add_f32_e32 v8, v9, v8
	v_fma_f32 v9, 0xbf27a4f4, v64, -v11
	v_add_f32_e32 v5, v100, v5
	v_fma_f32 v100, 0xbf75a155, v81, -v101
	v_fmamk_f32 v11, v82, 0xbf75a155, v102
	v_fmac_f32_e32 v10, 0xbe11bafb, v72
	v_add_f32_e32 v9, v9, v21
	v_fma_f32 v95, 0xbe11bafb, v73, -v95
	v_add_f32_e32 v5, v100, v5
	v_mul_f32_e32 v100, 0x3f68dda4, v96
	v_add_f32_e32 v8, v11, v8
	v_mul_f32_e32 v11, 0x3f68dda4, v97
	v_add_f32_e32 v10, v10, v4
	v_add_f32_e32 v9, v95, v9
	v_fmac_f32_e32 v98, 0x3f575c64, v76
	v_fma_f32 v95, 0x3f575c64, v77, -v99
	v_mul_f32_e32 v6, 0xbe903f40, v6
	v_fma_f32 v103, 0x3ed4b147, v85, -v100
	v_fmamk_f32 v99, v84, 0x3ed4b147, v11
	v_add_f32_e32 v10, v98, v10
	v_add_f32_e32 v9, v95, v9
	v_fmac_f32_e32 v101, 0xbf75a155, v81
	v_fma_f32 v95, 0xbf75a155, v82, -v102
	v_fma_f32 v98, 0xbf75a155, v63, -v6
	v_mul_f32_e32 v53, 0x3f0a6770, v53
	v_add_f32_e32 v4, v103, v5
	v_add_f32_e32 v5, v99, v8
	;; [unrolled: 1-line block ×5, first 2 shown]
	v_fma_f32 v95, 0x3f575c64, v72, -v53
	v_mul_f32_e32 v91, 0xbf4178ce, v91
	v_mul_f32_e32 v7, 0xbe903f40, v7
	v_fmac_f32_e32 v100, 0x3ed4b147, v85
	v_mul_f32_e32 v90, 0x3f0a6770, v90
	v_add_f32_e32 v95, v95, v10
	v_fma_f32 v98, 0xbf27a4f4, v76, -v91
	v_fmamk_f32 v99, v64, 0xbf75a155, v7
	v_fmac_f32_e32 v6, 0xbf75a155, v63
	v_fma_f32 v11, 0x3ed4b147, v84, -v11
	v_add_f32_e32 v10, v100, v8
	v_mul_f32_e32 v8, 0x3f68dda4, v93
	v_add_f32_e32 v93, v98, v95
	v_add_f32_e32 v95, v99, v21
	v_fmamk_f32 v98, v73, 0x3f575c64, v90
	v_mul_f32_e32 v92, 0xbf4178ce, v92
	v_fma_f32 v7, 0xbf75a155, v64, -v7
	v_add_f32_e32 v6, v6, v20
	v_fmac_f32_e32 v53, 0x3f575c64, v72
	v_add_f32_e32 v11, v11, v9
	v_mul_f32_e32 v9, 0xbf7d64f0, v96
	v_add_f32_e32 v95, v98, v95
	v_fmamk_f32 v96, v77, 0xbf27a4f4, v92
	v_mul_f32_e32 v94, 0x3f68dda4, v94
	v_add_f32_e32 v7, v7, v21
	v_fma_f32 v90, 0x3f575c64, v73, -v90
	v_add_f32_e32 v6, v53, v6
	v_fmac_f32_e32 v91, 0xbf27a4f4, v76
	v_add_f32_e32 v95, v96, v95
	v_fmamk_f32 v96, v82, 0x3ed4b147, v94
	v_mul_f32_e32 v97, 0xbf7d64f0, v97
	v_add_f32_e32 v7, v90, v7
	v_fma_f32 v53, 0xbf27a4f4, v77, -v92
	v_fma_f32 v99, 0x3ed4b147, v81, -v8
	v_add_f32_e32 v91, v91, v6
	v_fmac_f32_e32 v8, 0x3ed4b147, v81
	v_add_f32_e32 v90, v96, v95
	v_fmamk_f32 v92, v84, 0xbe11bafb, v97
	v_add_f32_e32 v53, v53, v7
	v_fma_f32 v94, 0x3ed4b147, v82, -v94
	v_fma_f32 v98, 0xbe11bafb, v85, -v9
	v_add_f32_e32 v8, v8, v91
	v_fmac_f32_e32 v9, 0xbe11bafb, v85
	v_add_f32_e32 v93, v99, v93
	v_add_f32_e32 v7, v92, v90
	;; [unrolled: 1-line block ×3, first 2 shown]
	v_fma_f32 v91, 0xbe11bafb, v84, -v97
	v_add_co_u32 v53, s0, v139, 55
	v_add_f32_e32 v8, v9, v8
	v_add_co_ci_u32_e64 v9, null, 0, 0, s0
	v_add_f32_e32 v6, v98, v93
	v_add_f32_e32 v9, v91, v90
	v_mul_u32_u24_e32 v140, 11, v53
	ds_write2_b64 v144, v[42:43], v[46:47] offset0:4 offset1:5
	ds_write2_b64 v144, v[48:49], v[44:45] offset0:6 offset1:7
	ds_write2_b64 v144, v[36:37], v[34:35] offset0:8 offset1:9
	ds_write_b64 v144, v[32:33] offset:80
	s_and_saveexec_b32 s0, vcc_lo
	s_cbranch_execz .LBB0_7
; %bb.6:
	v_mul_f32_e32 v37, 0xbe11bafb, v64
	v_add_f32_e32 v23, v23, v21
	v_add_f32_e32 v22, v22, v20
	v_mul_f32_e32 v36, 0xbe11bafb, v63
	v_mul_f32_e32 v47, 0xbf75a155, v73
	v_add_f32_e32 v37, v62, v37
	v_add_f32_e32 v23, v29, v23
	;; [unrolled: 1-line block ×3, first 2 shown]
	v_mul_f32_e32 v46, 0xbf75a155, v72
	v_sub_f32_e32 v36, v36, v60
	v_mul_f32_e32 v43, 0x3ed4b147, v73
	v_mul_f32_e32 v45, 0xbf27a4f4, v73
	;; [unrolled: 1-line block ×3, first 2 shown]
	v_add_f32_e32 v37, v37, v21
	v_add_f32_e32 v47, v70, v47
	;; [unrolled: 1-line block ×4, first 2 shown]
	v_mul_f32_e32 v33, 0x3ed4b147, v64
	v_mul_f32_e32 v42, 0x3ed4b147, v72
	;; [unrolled: 1-line block ×4, first 2 shown]
	v_add_f32_e32 v36, v36, v20
	v_sub_f32_e32 v46, v46, v68
	v_mul_f32_e32 v34, 0x3f575c64, v63
	v_mul_f32_e32 v35, 0x3f575c64, v64
	;; [unrolled: 1-line block ×4, first 2 shown]
	v_add_f32_e32 v37, v47, v37
	v_add_f32_e32 v47, v87, v73
	;; [unrolled: 1-line block ×4, first 2 shown]
	v_mul_f32_e32 v48, 0xbe11bafb, v76
	v_mul_f32_e32 v49, 0xbe11bafb, v77
	;; [unrolled: 1-line block ×7, first 2 shown]
	v_add_f32_e32 v36, v46, v36
	v_sub_f32_e32 v46, v72, v78
	v_add_f32_e32 v33, v57, v33
	v_add_f32_e32 v37, v47, v37
	;; [unrolled: 1-line block ×3, first 2 shown]
	v_mul_f32_e32 v57, 0xbf27a4f4, v84
	v_sub_f32_e32 v32, v32, v56
	v_add_f32_e32 v35, v51, v35
	v_sub_f32_e32 v30, v34, v50
	v_add_f32_e32 v23, v27, v23
	v_add_f32_e32 v24, v26, v24
	v_mul_f32_e32 v70, 0xbf27a4f4, v85
	v_add_f32_e32 v36, v46, v36
	v_sub_f32_e32 v46, v81, v79
	v_add_f32_e32 v33, v33, v21
	v_add_f32_e32 v45, v65, v45
	;; [unrolled: 1-line block ×8, first 2 shown]
	v_sub_f32_e32 v28, v42, v54
	v_add_f32_e32 v17, v17, v23
	v_add_f32_e32 v16, v16, v24
	;; [unrolled: 1-line block ×3, first 2 shown]
	v_sub_f32_e32 v46, v70, v86
	v_add_f32_e32 v45, v45, v33
	v_add_f32_e32 v56, v71, v64
	v_sub_f32_e32 v44, v44, v61
	v_mul_f32_e32 v62, 0xbf27a4f4, v82
	v_add_f32_e32 v21, v25, v21
	v_add_f32_e32 v25, v59, v49
	;; [unrolled: 1-line block ×3, first 2 shown]
	v_sub_f32_e32 v23, v48, v58
	v_add_f32_e32 v17, v19, v17
	v_add_f32_e32 v16, v18, v16
	v_mul_f32_e32 v90, 0xbe11bafb, v82
	v_add_f32_e32 v32, v46, v36
	v_add_f32_e32 v36, v56, v45
	;; [unrolled: 1-line block ×3, first 2 shown]
	v_sub_f32_e32 v45, v63, v69
	v_mul_f32_e32 v60, 0xbf75a155, v85
	v_mul_f32_e32 v82, 0xbf75a155, v84
	v_add_f32_e32 v21, v25, v21
	v_add_f32_e32 v24, v67, v62
	;; [unrolled: 1-line block ×3, first 2 shown]
	v_sub_f32_e32 v19, v76, v66
	v_add_f32_e32 v13, v13, v17
	v_add_f32_e32 v12, v12, v16
	v_mul_f32_e32 v68, 0x3f575c64, v85
	v_mul_f32_e32 v73, 0x3f575c64, v84
	v_add_f32_e32 v33, v47, v37
	v_add_f32_e32 v37, v75, v90
	v_add_f32_e32 v44, v45, v44
	v_sub_f32_e32 v29, v77, v74
	v_add_f32_e32 v20, v24, v21
	v_add_f32_e32 v16, v80, v82
	;; [unrolled: 1-line block ×3, first 2 shown]
	v_sub_f32_e32 v18, v60, v38
	v_add_f32_e32 v15, v15, v13
	v_add_f32_e32 v14, v14, v12
	;; [unrolled: 1-line block ×5, first 2 shown]
	v_sub_f32_e32 v19, v68, v39
	v_add_f32_e32 v13, v16, v20
	v_add_f32_e32 v12, v18, v17
	;; [unrolled: 1-line block ×4, first 2 shown]
	v_lshlrev_b32_e32 v16, 3, v140
	v_add_f32_e32 v22, v37, v36
	v_add_f32_e32 v21, v19, v29
	ds_write2_b64 v16, v[14:15], v[12:13] offset1:1
	ds_write2_b64 v16, v[21:22], v[32:33] offset0:2 offset1:3
	ds_write2_b64 v16, v[4:5], v[6:7] offset0:4 offset1:5
	;; [unrolled: 1-line block ×4, first 2 shown]
	ds_write_b64 v16, v[136:137] offset:80
.LBB0_7:
	s_or_b32 exec_lo, exec_lo, s0
	v_and_b32_e32 v12, 0xff, v139
	v_and_b32_e32 v13, 0xff, v53
	v_add_co_u32 v54, null, 0x6e, v139
	s_waitcnt lgkmcnt(0)
	v_mul_lo_u16 v12, 0x75, v12
	v_mul_lo_u16 v13, 0x75, v13
	v_and_b32_e32 v64, 0xff, v54
	s_barrier
	buffer_gl0_inv
	v_lshrrev_b16 v12, 8, v12
	v_lshrrev_b16 v13, 8, v13
	v_add_nc_u32_e32 v85, 0x800, v138
	v_add_nc_u32_e32 v97, 0x1000, v138
	v_mov_b32_e32 v73, 55
	v_sub_nc_u16 v14, v139, v12
	v_sub_nc_u16 v15, v53, v13
	v_add_nc_u32_e32 v86, 0x400, v138
	v_mul_lo_u16 v74, 0x95, v64
	v_lshlrev_b32_e32 v55, 5, v139
	v_lshrrev_b16 v14, 1, v14
	v_lshrrev_b16 v15, 1, v15
	;; [unrolled: 1-line block ×3, first 2 shown]
	v_and_b32_e32 v14, 0x7f, v14
	v_add_nc_u16 v12, v14, v12
	v_and_b32_e32 v14, 0x7f, v15
	v_lshrrev_b16 v65, 3, v12
	v_mul_lo_u16 v12, 0x75, v64
	v_add_nc_u16 v13, v14, v13
	v_mul_lo_u16 v14, v65, 11
	v_lshrrev_b16 v12, 8, v12
	v_lshrrev_b16 v66, 3, v13
	v_mul_u32_u24_sdwa v75, v65, v73 dst_sel:DWORD dst_unused:UNUSED_PAD src0_sel:WORD_0 src1_sel:DWORD
	v_sub_nc_u16 v13, v139, v14
	v_sub_nc_u16 v14, v54, v12
	v_mul_lo_u16 v15, v66, 11
	v_mul_u32_u24_sdwa v76, v66, v73 dst_sel:DWORD dst_unused:UNUSED_PAD src0_sel:WORD_0 src1_sel:DWORD
	v_and_b32_e32 v70, 0xff, v13
	v_lshrrev_b16 v13, 1, v14
	v_sub_nc_u16 v14, v53, v15
	v_lshlrev_b32_e32 v53, 4, v53
	v_lshlrev_b32_e32 v15, 5, v70
	v_and_b32_e32 v13, 0x7f, v13
	v_and_b32_e32 v71, 0xff, v14
	v_add_lshl_u32 v143, v75, v70, 3
	s_clause 0x1
	global_load_dwordx4 v[32:35], v15, s[4:5]
	global_load_dwordx4 v[28:31], v15, s[4:5] offset:16
	v_add_nc_u16 v12, v13, v12
	v_lshlrev_b32_e32 v13, 5, v71
	v_add_lshl_u32 v142, v76, v71, 3
	v_lshrrev_b16 v67, 3, v12
	s_clause 0x1
	global_load_dwordx4 v[24:27], v13, s[4:5]
	global_load_dwordx4 v[16:19], v13, s[4:5] offset:16
	v_mul_lo_u16 v12, v67, 11
	v_mul_u32_u24_sdwa v73, v67, v73 dst_sel:DWORD dst_unused:UNUSED_PAD src0_sel:WORD_0 src1_sel:DWORD
	v_sub_nc_u16 v12, v54, v12
	v_and_b32_e32 v72, 0xff, v12
	v_lshlrev_b32_e32 v12, 5, v72
	v_add_lshl_u32 v141, v73, v72, 3
	s_clause 0x1
	global_load_dwordx4 v[20:23], v12, s[4:5]
	global_load_dwordx4 v[12:15], v12, s[4:5] offset:16
	ds_read2_b64 v[40:43], v138 offset1:55
	ds_read2_b64 v[36:39], v138 offset0:110 offset1:165
	ds_read_b64 v[68:69], v138 offset:6160
	ds_read2_b64 v[44:47], v85 offset0:74 offset1:129
	ds_read2_b64 v[48:51], v85 offset0:184 offset1:239
	;; [unrolled: 1-line block ×5, first 2 shown]
	s_waitcnt vmcnt(0) lgkmcnt(0)
	s_barrier
	buffer_gl0_inv
	v_mul_f32_e32 v70, v39, v33
	v_mul_f32_e32 v71, v38, v33
	;; [unrolled: 1-line block ×16, first 2 shown]
	v_fma_f32 v38, v38, v32, -v70
	v_fmac_f32_e32 v71, v39, v32
	v_fma_f32 v39, v44, v34, -v72
	v_fmac_f32_e32 v73, v45, v34
	;; [unrolled: 2-line block ×7, first 2 shown]
	v_fma_f32 v44, v60, v24, -v79
	v_mul_f32_e32 v46, v63, v21
	v_mul_f32_e32 v47, v62, v21
	;; [unrolled: 1-line block ×8, first 2 shown]
	v_fmac_f32_e32 v80, v61, v24
	v_fma_f32 v46, v62, v20, -v46
	v_fmac_f32_e32 v47, v63, v20
	v_fma_f32 v60, v48, v22, -v56
	;; [unrolled: 2-line block ×4, first 2 shown]
	v_fmac_f32_e32 v72, v69, v14
	v_add_f32_e32 v48, v40, v38
	v_add_f32_e32 v49, v39, v50
	v_sub_f32_e32 v61, v71, v78
	v_add_f32_e32 v58, v38, v70
	v_sub_f32_e32 v63, v39, v38
	v_sub_f32_e32 v67, v50, v70
	v_add_f32_e32 v69, v41, v71
	v_sub_f32_e32 v81, v71, v73
	v_add_f32_e32 v87, v71, v78
	v_sub_f32_e32 v71, v73, v71
	v_sub_f32_e32 v89, v76, v78
	v_sub_f32_e32 v56, v38, v39
	v_sub_f32_e32 v57, v70, v50
	v_add_f32_e32 v75, v73, v76
	v_add_f32_e32 v90, v42, v44
	v_sub_f32_e32 v94, v44, v45
	v_sub_f32_e32 v95, v64, v51
	v_add_f32_e32 v101, v82, v84
	v_add_f32_e32 v91, v45, v51
	v_sub_f32_e32 v77, v38, v70
	v_sub_f32_e32 v83, v78, v76
	v_add_f32_e32 v96, v44, v64
	v_add_f32_e32 v100, v43, v80
	v_add_f32_e32 v135, v80, v88
	v_add_f32_e32 v48, v48, v39
	v_fma_f32 v38, -0.5, v49, v40
	v_fma_f32 v40, -0.5, v58, v40
	v_add_f32_e32 v147, v63, v67
	v_add_f32_e32 v71, v71, v89
	;; [unrolled: 1-line block ×5, first 2 shown]
	v_sub_f32_e32 v62, v73, v76
	v_sub_f32_e32 v79, v39, v50
	v_sub_f32_e32 v92, v80, v88
	v_sub_f32_e32 v98, v45, v44
	v_sub_f32_e32 v99, v51, v64
	v_sub_f32_e32 v103, v45, v51
	v_sub_f32_e32 v104, v80, v82
	v_sub_f32_e32 v134, v88, v84
	v_sub_f32_e32 v80, v82, v80
	v_sub_f32_e32 v145, v84, v88
	v_add_f32_e32 v146, v56, v57
	v_add_f32_e32 v49, v69, v73
	v_fma_f32 v39, -0.5, v75, v41
	v_fma_f32 v41, -0.5, v87, v41
	v_add_f32_e32 v56, v90, v45
	v_add_f32_e32 v73, v94, v95
	v_fma_f32 v45, -0.5, v101, v43
	v_sub_f32_e32 v67, v46, v60
	v_sub_f32_e32 v87, v68, v66
	v_add_f32_e32 v94, v37, v47
	v_add_f32_e32 v95, v59, v65
	;; [unrolled: 1-line block ×3, first 2 shown]
	v_sub_f32_e32 v102, v44, v64
	v_fma_f32 v44, -0.5, v91, v42
	v_sub_f32_e32 v93, v82, v84
	v_add_f32_e32 v69, v81, v83
	v_fma_f32 v42, -0.5, v96, v42
	v_add_f32_e32 v57, v100, v82
	v_fmac_f32_e32 v43, -0.5, v135
	v_sub_f32_e32 v83, v59, v65
	v_add_f32_e32 v135, v48, v50
	v_add_f32_e32 v148, v58, v60
	v_fma_f32 v58, -0.5, v63, v36
	v_fma_f32 v36, -0.5, v89, v36
	v_add_f32_e32 v75, v98, v99
	v_add_f32_e32 v81, v104, v134
	;; [unrolled: 1-line block ×3, first 2 shown]
	v_sub_f32_e32 v82, v47, v72
	v_sub_f32_e32 v90, v60, v46
	;; [unrolled: 1-line block ×6, first 2 shown]
	v_fmamk_f32 v46, v61, 0x3f737871, v38
	v_fmac_f32_e32 v38, 0xbf737871, v61
	v_fmamk_f32 v48, v62, 0xbf737871, v40
	v_fmac_f32_e32 v40, 0x3f737871, v62
	v_add_f32_e32 v76, v49, v76
	v_fmamk_f32 v47, v77, 0xbf737871, v39
	v_add_f32_e32 v145, v56, v51
	v_add_f32_e32 v87, v67, v87
	v_add_f32_e32 v67, v94, v59
	v_fma_f32 v59, -0.5, v95, v37
	v_fmac_f32_e32 v37, -0.5, v101
	v_fmamk_f32 v49, v79, 0x3f737871, v41
	v_fmac_f32_e32 v41, 0xbf737871, v79
	v_fmac_f32_e32 v39, 0x3f737871, v77
	v_fmamk_f32 v50, v92, 0x3f737871, v44
	v_fmamk_f32 v51, v102, 0xbf737871, v45
	v_sub_f32_e32 v91, v66, v68
	v_fmamk_f32 v56, v93, 0xbf737871, v42
	v_fmac_f32_e32 v42, 0x3f737871, v93
	v_add_f32_e32 v84, v57, v84
	v_fmamk_f32 v57, v103, 0x3f737871, v43
	v_fmac_f32_e32 v43, 0xbf737871, v103
	v_add_f32_e32 v60, v135, v70
	v_add_f32_e32 v70, v148, v66
	v_fmamk_f32 v66, v83, 0xbf737871, v36
	v_fmac_f32_e32 v36, 0x3f737871, v83
	v_sub_f32_e32 v100, v72, v65
	v_sub_f32_e32 v134, v65, v72
	v_fmac_f32_e32 v44, 0xbf737871, v92
	v_fmac_f32_e32 v45, 0x3f737871, v102
	;; [unrolled: 1-line block ×6, first 2 shown]
	v_add_f32_e32 v61, v76, v78
	v_fmac_f32_e32 v47, 0xbf167918, v79
	v_add_f32_e32 v62, v145, v64
	v_fmamk_f32 v64, v82, 0x3f737871, v58
	v_fmac_f32_e32 v58, 0xbf737871, v82
	v_add_f32_e32 v76, v67, v65
	v_fmamk_f32 v65, v96, 0xbf737871, v59
	v_fmac_f32_e32 v59, 0x3f737871, v96
	v_fmamk_f32 v67, v98, 0x3f737871, v37
	v_fmac_f32_e32 v37, 0xbf737871, v98
	v_fmac_f32_e32 v49, 0xbf167918, v77
	;; [unrolled: 1-line block ×6, first 2 shown]
	v_add_f32_e32 v89, v90, v91
	v_fmac_f32_e32 v56, 0x3f167918, v92
	v_fmac_f32_e32 v42, 0xbf167918, v92
	;; [unrolled: 1-line block ×5, first 2 shown]
	v_add_f32_e32 v90, v99, v100
	v_add_f32_e32 v91, v104, v134
	v_fmac_f32_e32 v44, 0xbf167918, v93
	v_fmac_f32_e32 v45, 0x3f167918, v103
	;; [unrolled: 1-line block ×17, first 2 shown]
	v_add_f32_e32 v63, v84, v88
	v_fmac_f32_e32 v50, 0x3e9e377a, v73
	v_fmac_f32_e32 v51, 0x3e9e377a, v81
	;; [unrolled: 1-line block ×9, first 2 shown]
	v_add_f32_e32 v68, v70, v68
	v_add_f32_e32 v69, v76, v72
	v_fmac_f32_e32 v64, 0x3e9e377a, v87
	v_fmac_f32_e32 v58, 0x3e9e377a, v87
	;; [unrolled: 1-line block ×7, first 2 shown]
	ds_write2_b64 v143, v[60:61], v[46:47] offset1:11
	ds_write2_b64 v143, v[48:49], v[40:41] offset0:22 offset1:33
	ds_write_b64 v143, v[38:39] offset:352
	ds_write2_b64 v142, v[62:63], v[50:51] offset1:11
	ds_write2_b64 v142, v[56:57], v[42:43] offset0:22 offset1:33
	ds_write_b64 v142, v[44:45] offset:352
	;; [unrolled: 3-line block ×3, first 2 shown]
	v_mul_lo_u16 v36, v74, 55
	v_mov_b32_e32 v37, 5
	s_waitcnt lgkmcnt(0)
	s_barrier
	buffer_gl0_inv
	v_sub_nc_u16 v69, v54, v36
	s_clause 0x1
	global_load_dwordx4 v[48:51], v55, s[4:5] offset:352
	global_load_dwordx4 v[40:43], v55, s[4:5] offset:368
	v_lshlrev_b32_e32 v56, 4, v139
	v_add_co_u32 v55, s0, s4, v55
	v_lshlrev_b32_sdwa v36, v37, v69 dst_sel:DWORD dst_unused:UNUSED_PAD src0_sel:DWORD src1_sel:BYTE_0
	s_clause 0x1
	global_load_dwordx4 v[44:47], v36, s[4:5] offset:352
	global_load_dwordx4 v[36:39], v36, s[4:5] offset:368
	v_add_co_ci_u32_e64 v57, null, s5, 0, s0
	v_add_co_u32 v53, s0, s4, v53
	v_add_co_ci_u32_e64 v58, null, s5, 0, s0
	v_sub_co_u32 v77, s0, v55, v56
	v_lshlrev_b32_e32 v54, 4, v54
	v_subrev_co_ci_u32_e64 v78, s0, 0, v57, s0
	v_add_nc_u32_e32 v59, 0xa50, v56
	v_add_co_u32 v81, s0, 0x800, v53
	v_add_nc_u32_e32 v65, 0xdc0, v56
	v_add_co_ci_u32_e64 v82, s0, 0, v58, s0
	v_add_co_u32 v89, s0, s4, v54
	v_add_co_ci_u32_e64 v90, null, s5, 0, s0
	v_add_co_u32 v91, s0, s4, v59
	v_add_co_ci_u32_e64 v92, null, s5, 0, s0
	ds_read2_b64 v[53:56], v138 offset0:110 offset1:165
	ds_read2_b64 v[57:60], v85 offset0:74 offset1:129
	;; [unrolled: 1-line block ×3, first 2 shown]
	v_add_co_u32 v93, s0, s4, v65
	ds_read2_b64 v[65:68], v97 offset0:148 offset1:203
	v_add_co_ci_u32_e64 v94, null, s5, 0, s0
	v_lshlrev_b32_sdwa v145, v52, v69 dst_sel:DWORD dst_unused:UNUSED_PAD src0_sel:DWORD src1_sel:BYTE_0
	ds_read2_b64 v[69:72], v86 offset0:92 offset1:147
	ds_read2_b64 v[73:76], v97 offset0:38 offset1:93
	v_add_co_u32 v83, s0, 0x800, v77
	v_add_co_ci_u32_e64 v84, s0, 0, v78, s0
	ds_read2_b64 v[77:80], v138 offset1:55
	ds_read_b64 v[87:88], v138 offset:6160
	v_add_nc_u32_e32 v52, 0x1000, v145
	s_waitcnt vmcnt(0) lgkmcnt(0)
	s_barrier
	buffer_gl0_inv
	v_mul_f32_e32 v95, v56, v49
	v_mul_f32_e32 v96, v55, v49
	;; [unrolled: 1-line block ×24, first 2 shown]
	v_fma_f32 v55, v55, v48, -v95
	v_fmac_f32_e32 v96, v56, v48
	v_fma_f32 v56, v57, v50, -v98
	v_fmac_f32_e32 v99, v58, v50
	;; [unrolled: 2-line block ×12, first 2 shown]
	v_add_f32_e32 v60, v77, v55
	v_add_f32_e32 v62, v56, v63
	v_sub_f32_e32 v64, v55, v56
	v_sub_f32_e32 v65, v95, v63
	v_add_f32_e32 v70, v78, v96
	v_add_f32_e32 v72, v99, v101
	;; [unrolled: 1-line block ×4, first 2 shown]
	v_sub_f32_e32 v67, v56, v55
	v_sub_f32_e32 v68, v63, v95
	v_add_f32_e32 v135, v79, v57
	v_add_f32_e32 v147, v59, v69
	;; [unrolled: 1-line block ×6, first 2 shown]
	v_sub_f32_e32 v76, v96, v103
	v_sub_f32_e32 v100, v55, v95
	;; [unrolled: 1-line block ×5, first 2 shown]
	v_add_f32_e32 v169, v53, v58
	v_add_f32_e32 v170, v61, v71
	;; [unrolled: 1-line block ×8, first 2 shown]
	v_fma_f32 v55, -0.5, v62, v77
	v_add_f32_e32 v64, v70, v99
	v_fma_f32 v56, -0.5, v72, v78
	v_sub_f32_e32 v88, v99, v101
	v_sub_f32_e32 v153, v57, v59
	;; [unrolled: 1-line block ×7, first 2 shown]
	v_fma_f32 v57, -0.5, v66, v77
	v_fma_f32 v58, -0.5, v75, v78
	v_sub_f32_e32 v149, v134, v150
	v_sub_f32_e32 v151, v146, v148
	;; [unrolled: 1-line block ×3, first 2 shown]
	v_add_f32_e32 v188, v67, v68
	v_add_f32_e32 v67, v135, v59
	v_fma_f32 v59, -0.5, v147, v79
	v_fma_f32 v79, -0.5, v157, v79
	v_add_f32_e32 v68, v161, v146
	v_fma_f32 v60, -0.5, v162, v80
	v_fmac_f32_e32 v80, -0.5, v167
	v_sub_f32_e32 v96, v99, v96
	v_sub_f32_e32 v104, v101, v103
	v_sub_f32_e32 v155, v98, v69
	v_sub_f32_e32 v171, v152, v158
	v_sub_f32_e32 v172, v154, v156
	v_sub_f32_e32 v181, v61, v71
	v_add_f32_e32 v99, v73, v74
	v_add_f32_e32 v72, v169, v61
	v_fma_f32 v61, -0.5, v170, v53
	v_fma_f32 v53, -0.5, v175, v53
	v_add_f32_e32 v74, v178, v154
	v_fma_f32 v62, -0.5, v179, v54
	v_fmac_f32_e32 v54, -0.5, v184
	v_add_f32_e32 v75, v186, v63
	v_fmamk_f32 v63, v76, 0x3f737871, v55
	v_add_f32_e32 v77, v64, v101
	v_fmamk_f32 v64, v100, 0xbf737871, v56
	v_fmamk_f32 v65, v88, 0xbf737871, v57
	v_fmac_f32_e32 v57, 0x3f737871, v88
	v_fmamk_f32 v66, v102, 0x3f737871, v58
	v_fmac_f32_e32 v58, 0xbf737871, v102
	v_fmac_f32_e32 v55, 0xbf737871, v76
	;; [unrolled: 1-line block ×3, first 2 shown]
	v_sub_f32_e32 v160, v69, v98
	v_sub_f32_e32 v165, v134, v146
	;; [unrolled: 1-line block ×5, first 2 shown]
	v_add_f32_e32 v78, v67, v69
	v_fmamk_f32 v67, v149, 0x3f737871, v59
	v_fmamk_f32 v69, v151, 0xbf737871, v79
	v_add_f32_e32 v101, v68, v148
	v_fmamk_f32 v68, v163, 0xbf737871, v60
	v_fmamk_f32 v70, v164, 0x3f737871, v80
	v_fmac_f32_e32 v59, 0xbf737871, v149
	v_fmac_f32_e32 v79, 0x3f737871, v151
	;; [unrolled: 1-line block ×4, first 2 shown]
	v_sub_f32_e32 v174, v87, v71
	v_sub_f32_e32 v177, v71, v87
	;; [unrolled: 1-line block ×6, first 2 shown]
	v_add_f32_e32 v96, v96, v104
	v_add_f32_e32 v104, v153, v155
	;; [unrolled: 1-line block ×3, first 2 shown]
	v_fmamk_f32 v71, v171, 0x3f737871, v61
	v_fmac_f32_e32 v61, 0xbf737871, v171
	v_fmamk_f32 v73, v172, 0xbf737871, v53
	v_fmac_f32_e32 v53, 0x3f737871, v172
	v_add_f32_e32 v155, v74, v156
	v_fmamk_f32 v72, v180, 0xbf737871, v62
	v_fmac_f32_e32 v62, 0x3f737871, v180
	v_fmamk_f32 v74, v181, 0x3f737871, v54
	v_fmac_f32_e32 v54, 0xbf737871, v181
	v_fmac_f32_e32 v63, 0x3f167918, v88
	;; [unrolled: 1-line block ×9, first 2 shown]
	v_add_f32_e32 v135, v159, v160
	v_add_f32_e32 v146, v165, v166
	;; [unrolled: 1-line block ×3, first 2 shown]
	v_fmac_f32_e32 v67, 0x3f167918, v151
	v_fmac_f32_e32 v69, 0x3f167918, v149
	;; [unrolled: 1-line block ×8, first 2 shown]
	v_add_f32_e32 v147, v173, v174
	v_add_f32_e32 v153, v176, v177
	;; [unrolled: 1-line block ×6, first 2 shown]
	v_fmac_f32_e32 v71, 0x3f167918, v172
	v_fmac_f32_e32 v61, 0xbf167918, v172
	;; [unrolled: 1-line block ×14, first 2 shown]
	v_add_f32_e32 v77, v78, v98
	v_add_f32_e32 v78, v101, v150
	v_fmac_f32_e32 v55, 0x3e9e377a, v187
	v_fmac_f32_e32 v56, 0x3e9e377a, v99
	;; [unrolled: 1-line block ×10, first 2 shown]
	v_add_f32_e32 v87, v148, v87
	v_add_f32_e32 v88, v155, v158
	v_fmac_f32_e32 v71, 0x3e9e377a, v147
	v_fmac_f32_e32 v61, 0x3e9e377a, v147
	;; [unrolled: 1-line block ×8, first 2 shown]
	ds_write2_b64 v138, v[75:76], v[63:64] offset1:55
	ds_write2_b64 v138, v[65:66], v[57:58] offset0:110 offset1:165
	ds_write2_b64 v86, v[55:56], v[77:78] offset0:92 offset1:147
	;; [unrolled: 1-line block ×6, first 2 shown]
	ds_write_b64 v145, v[61:62] offset:6160
	v_add_co_u32 v52, s0, 0x800, v89
	v_add_co_ci_u32_e64 v53, s0, 0, v90, s0
	v_add_co_u32 v54, s0, 0x800, v91
	v_add_co_ci_u32_e64 v55, s0, 0, v92, s0
	s_waitcnt lgkmcnt(0)
	s_barrier
	buffer_gl0_inv
	s_clause 0x1
	global_load_dwordx4 v[64:67], v[81:82], off offset:64
	global_load_dwordx4 v[60:63], v[52:53], off offset:64
	v_add_co_u32 v52, s0, 0x800, v93
	global_load_dwordx4 v[68:71], v[83:84], off offset:64
	v_add_co_ci_u32_e64 v53, s0, 0, v94, s0
	s_clause 0x1
	global_load_dwordx4 v[56:59], v[54:55], off offset:64
	global_load_dwordx4 v[52:55], v[52:53], off offset:64
	ds_read2_b64 v[76:79], v86 offset0:92 offset1:147
	ds_read2_b64 v[87:90], v97 offset0:38 offset1:93
	;; [unrolled: 1-line block ×5, first 2 shown]
	ds_read2_b64 v[150:153], v138 offset1:55
	ds_read_b64 v[80:81], v138 offset:6160
	ds_read2_b64 v[72:75], v138 offset0:110 offset1:165
	v_add_co_u32 v83, s0, 0x19c8, v109
	v_add_co_ci_u32_e64 v84, s0, 0, v110, s0
	v_add_co_u32 v134, s0, 0x1800, v109
	v_add_co_ci_u32_e64 v135, s0, 0, v110, s0
	s_waitcnt vmcnt(4) lgkmcnt(5)
	v_mul_f32_e32 v103, v92, v65
	v_mul_f32_e32 v104, v91, v65
	;; [unrolled: 1-line block ×4, first 2 shown]
	s_waitcnt vmcnt(2)
	v_mul_f32_e32 v82, v79, v69
	v_mul_f32_e32 v95, v78, v69
	;; [unrolled: 1-line block ×6, first 2 shown]
	s_waitcnt lgkmcnt(4)
	v_mul_f32_e32 v158, v99, v63
	v_mul_f32_e32 v159, v98, v63
	s_waitcnt vmcnt(1) lgkmcnt(3)
	v_mul_f32_e32 v160, v147, v57
	v_mul_f32_e32 v161, v146, v57
	;; [unrolled: 1-line block ×4, first 2 shown]
	s_waitcnt vmcnt(0)
	v_mul_f32_e32 v164, v149, v53
	v_mul_f32_e32 v165, v148, v53
	s_waitcnt lgkmcnt(1)
	v_mul_f32_e32 v166, v81, v55
	v_mul_f32_e32 v167, v80, v55
	v_fma_f32 v78, v78, v68, -v82
	v_fmac_f32_e32 v95, v79, v68
	v_fma_f32 v79, v87, v70, -v96
	v_fmac_f32_e32 v102, v88, v70
	;; [unrolled: 2-line block ×10, first 2 shown]
	v_add_f32_e32 v90, v78, v79
	v_add_f32_e32 v94, v95, v102
	;; [unrolled: 1-line block ×7, first 2 shown]
	v_sub_f32_e32 v99, v95, v102
	v_sub_f32_e32 v78, v78, v79
	v_sub_f32_e32 v147, v157, v159
	s_waitcnt lgkmcnt(0)
	v_add_f32_e32 v148, v73, v157
	v_add_f32_e32 v157, v88, v96
	v_sub_f32_e32 v158, v161, v163
	v_add_f32_e32 v160, v75, v161
	v_add_f32_e32 v161, v161, v163
	;; [unrolled: 1-line block ×4, first 2 shown]
	v_sub_f32_e32 v168, v165, v167
	v_add_f32_e32 v169, v77, v165
	v_add_f32_e32 v165, v165, v167
	v_sub_f32_e32 v170, v89, v80
	v_fma_f32 v89, -0.5, v90, v150
	v_fma_f32 v90, -0.5, v94, v151
	v_add_f32_e32 v92, v151, v95
	v_add_f32_e32 v95, v152, v82
	;; [unrolled: 1-line block ×3, first 2 shown]
	v_sub_f32_e32 v101, v104, v155
	v_sub_f32_e32 v82, v82, v91
	v_add_f32_e32 v104, v72, v87
	v_sub_f32_e32 v154, v87, v93
	v_fma_f32 v152, -0.5, v98, v152
	v_fmac_f32_e32 v153, -0.5, v103
	v_fma_f32 v72, -0.5, v146, v72
	v_fma_f32 v73, -0.5, v149, v73
	v_add_f32_e32 v156, v74, v88
	v_sub_f32_e32 v162, v88, v96
	v_fma_f32 v74, -0.5, v157, v74
	v_fmac_f32_e32 v75, -0.5, v161
	v_fma_f32 v76, -0.5, v166, v76
	v_fmac_f32_e32 v77, -0.5, v165
	v_fmamk_f32 v98, v99, 0x3f5db3d7, v89
	v_fmac_f32_e32 v89, 0xbf5db3d7, v99
	v_fmamk_f32 v99, v78, 0xbf5db3d7, v90
	v_fmac_f32_e32 v90, 0x3f5db3d7, v78
	v_add_f32_e32 v87, v81, v79
	v_add_f32_e32 v88, v92, v102
	;; [unrolled: 1-line block ×4, first 2 shown]
	v_fmamk_f32 v100, v101, 0x3f5db3d7, v152
	v_fmac_f32_e32 v152, 0xbf5db3d7, v101
	v_fmamk_f32 v101, v82, 0xbf5db3d7, v153
	v_fmamk_f32 v102, v147, 0x3f5db3d7, v72
	;; [unrolled: 1-line block ×3, first 2 shown]
	v_fmac_f32_e32 v153, 0x3f5db3d7, v82
	v_fmac_f32_e32 v72, 0xbf5db3d7, v147
	;; [unrolled: 1-line block ×3, first 2 shown]
	v_add_f32_e32 v93, v104, v93
	v_add_f32_e32 v94, v148, v159
	;; [unrolled: 1-line block ×6, first 2 shown]
	v_fmamk_f32 v146, v158, 0x3f5db3d7, v74
	v_fmac_f32_e32 v74, 0xbf5db3d7, v158
	v_fmamk_f32 v147, v162, 0xbf5db3d7, v75
	v_fmac_f32_e32 v75, 0x3f5db3d7, v162
	;; [unrolled: 2-line block ×4, first 2 shown]
	ds_write_b64 v138, v[98:99] offset:2200
	ds_write_b64 v138, v[89:90] offset:4400
	ds_write2_b64 v138, v[87:88], v[91:92] offset1:55
	ds_write2_b64 v85, v[100:101], v[102:103] offset0:74 offset1:129
	ds_write2_b64 v97, v[152:153], v[72:73] offset0:93 offset1:148
	;; [unrolled: 1-line block ×3, first 2 shown]
	ds_write_b64 v138, v[74:75] offset:5720
	ds_write_b64 v138, v[79:80] offset:1760
	ds_write2_b64 v85, v[146:147], v[81:82] offset0:184 offset1:239
	ds_write_b64 v138, v[76:77] offset:6160
	s_waitcnt lgkmcnt(0)
	s_barrier
	buffer_gl0_inv
	s_clause 0x1
	global_load_dwordx2 v[72:73], v[134:135], off offset:456
	global_load_dwordx2 v[91:92], v[83:84], off offset:600
	v_add_co_u32 v87, s0, 0x2000, v109
	v_add_co_ci_u32_e64 v88, s0, 0, v110, s0
	v_add_co_u32 v89, s0, 0x2800, v109
	v_add_co_ci_u32_e64 v90, s0, 0, v110, s0
	s_clause 0x5
	global_load_dwordx2 v[95:96], v[83:84], off offset:1200
	global_load_dwordx2 v[102:103], v[83:84], off offset:1800
	;; [unrolled: 1-line block ×6, first 2 shown]
	v_add_co_u32 v87, s0, 0x3000, v109
	v_add_co_ci_u32_e64 v88, s0, 0, v110, s0
	s_clause 0x2
	global_load_dwordx2 v[158:159], v[89:90], off offset:1160
	global_load_dwordx2 v[160:161], v[89:90], off offset:1760
	;; [unrolled: 1-line block ×3, first 2 shown]
	ds_read2_b64 v[87:90], v138 offset1:75
	s_waitcnt vmcnt(10) lgkmcnt(0)
	v_mul_f32_e32 v78, v88, v73
	v_mul_f32_e32 v93, v87, v73
	s_waitcnt vmcnt(9)
	v_mul_f32_e32 v94, v90, v92
	v_mul_f32_e32 v73, v89, v92
	v_fma_f32 v92, v87, v72, -v78
	v_fmac_f32_e32 v93, v88, v72
	v_fma_f32 v72, v89, v91, -v94
	v_fmac_f32_e32 v73, v90, v91
	ds_write2_b64 v138, v[92:93], v[72:73] offset1:75
	ds_read2_b64 v[87:90], v138 offset0:150 offset1:225
	v_add_nc_u32_e32 v72, 0xc00, v138
	ds_read2_b64 v[91:94], v85 offset0:44 offset1:119
	ds_read2_b64 v[98:101], v72 offset0:66 offset1:141
	;; [unrolled: 1-line block ×3, first 2 shown]
	ds_read_b64 v[164:165], v138 offset:6000
	s_waitcnt vmcnt(8) lgkmcnt(4)
	v_mul_f32_e32 v73, v88, v96
	v_mul_f32_e32 v104, v87, v96
	s_waitcnt vmcnt(7)
	v_mul_f32_e32 v78, v90, v103
	v_mul_f32_e32 v96, v89, v103
	s_waitcnt vmcnt(6) lgkmcnt(3)
	v_mul_f32_e32 v166, v92, v151
	v_mul_f32_e32 v167, v91, v151
	s_waitcnt vmcnt(5)
	v_mul_f32_e32 v168, v94, v153
	v_mul_f32_e32 v151, v93, v153
	;; [unrolled: 6-line block ×4, first 2 shown]
	s_waitcnt vmcnt(0) lgkmcnt(0)
	v_mul_f32_e32 v173, v165, v163
	v_mul_f32_e32 v161, v164, v163
	v_fma_f32 v103, v87, v95, -v73
	v_fmac_f32_e32 v104, v88, v95
	v_fma_f32 v95, v89, v102, -v78
	v_fmac_f32_e32 v96, v90, v102
	;; [unrolled: 2-line block ×9, first 2 shown]
	ds_write2_b64 v138, v[103:104], v[95:96] offset0:150 offset1:225
	ds_write2_b64 v85, v[166:167], v[150:151] offset0:44 offset1:119
	;; [unrolled: 1-line block ×4, first 2 shown]
	ds_write_b64 v138, v[160:161] offset:6000
	s_and_saveexec_b32 s1, vcc_lo
	s_cbranch_execz .LBB0_9
; %bb.8:
	v_add_co_u32 v87, s0, 0x800, v83
	v_add_co_ci_u32_e64 v88, s0, 0, v84, s0
	s_clause 0x2
	global_load_dwordx2 v[95:96], v[83:84], off offset:440
	global_load_dwordx2 v[102:103], v[83:84], off offset:1040
	;; [unrolled: 1-line block ×3, first 2 shown]
	v_add_co_u32 v89, s0, 0x1000, v83
	v_add_co_ci_u32_e64 v90, s0, 0, v84, s0
	v_add_co_u32 v83, s0, 0x1800, v83
	v_add_co_ci_u32_e64 v84, s0, 0, v84, s0
	s_clause 0x7
	global_load_dwordx2 v[156:157], v[87:88], off offset:192
	global_load_dwordx2 v[158:159], v[87:88], off offset:792
	;; [unrolled: 1-line block ×8, first 2 shown]
	ds_read2_b64 v[87:90], v138 offset0:55 offset1:130
	ds_read2_b64 v[91:94], v86 offset0:77 offset1:152
	;; [unrolled: 1-line block ×5, first 2 shown]
	ds_read_b64 v[170:171], v138 offset:6440
	s_waitcnt vmcnt(10) lgkmcnt(5)
	v_mul_f32_e32 v73, v88, v96
	v_mul_f32_e32 v104, v87, v96
	s_waitcnt vmcnt(9)
	v_mul_f32_e32 v78, v90, v103
	v_mul_f32_e32 v96, v89, v103
	s_waitcnt vmcnt(8) lgkmcnt(4)
	v_mul_f32_e32 v172, v92, v155
	v_mul_f32_e32 v173, v91, v155
	v_fma_f32 v103, v87, v95, -v73
	v_fmac_f32_e32 v104, v88, v95
	s_waitcnt vmcnt(7)
	v_mul_f32_e32 v73, v94, v157
	v_mul_f32_e32 v88, v93, v157
	v_fma_f32 v95, v89, v102, -v78
	v_fmac_f32_e32 v96, v90, v102
	v_fma_f32 v172, v91, v154, -v172
	v_fmac_f32_e32 v173, v92, v154
	s_waitcnt vmcnt(6) lgkmcnt(3)
	v_mul_f32_e32 v78, v99, v159
	v_mul_f32_e32 v90, v98, v159
	s_waitcnt vmcnt(5)
	v_mul_f32_e32 v91, v101, v161
	v_mul_f32_e32 v92, v100, v161
	s_waitcnt vmcnt(4) lgkmcnt(2)
	v_mul_f32_e32 v154, v147, v163
	v_mul_f32_e32 v102, v146, v163
	s_waitcnt vmcnt(3)
	v_mul_f32_e32 v163, v149, v165
	v_mul_f32_e32 v155, v148, v165
	;; [unrolled: 6-line block ×3, first 2 shown]
	s_waitcnt vmcnt(0) lgkmcnt(0)
	v_mul_f32_e32 v169, v171, v84
	v_mul_f32_e32 v161, v170, v84
	v_fma_f32 v87, v93, v156, -v73
	v_fmac_f32_e32 v88, v94, v156
	v_fma_f32 v89, v98, v158, -v78
	v_fmac_f32_e32 v90, v99, v158
	;; [unrolled: 2-line block ×8, first 2 shown]
	ds_write2_b64 v138, v[103:104], v[95:96] offset0:55 offset1:130
	ds_write2_b64 v86, v[172:173], v[87:88] offset0:77 offset1:152
	;; [unrolled: 1-line block ×5, first 2 shown]
	ds_write_b64 v138, v[160:161] offset:6440
.LBB0_9:
	s_or_b32 exec_lo, exec_lo, s1
	s_waitcnt lgkmcnt(0)
	s_barrier
	buffer_gl0_inv
	ds_read2_b64 v[101:104], v138 offset1:75
	ds_read2_b64 v[93:96], v138 offset0:150 offset1:225
	ds_read2_b64 v[85:88], v85 offset0:44 offset1:119
	;; [unrolled: 1-line block ×4, first 2 shown]
	ds_read_b64 v[72:73], v138 offset:6000
	s_and_saveexec_b32 s0, vcc_lo
	s_cbranch_execz .LBB0_11
; %bb.10:
	v_add_nc_u32_e32 v0, 0x400, v138
	v_add_nc_u32_e32 v1, 0x800, v138
	ds_read2_b64 v[77:80], v138 offset0:55 offset1:130
	v_add_nc_u32_e32 v2, 0x1000, v138
	ds_read2_b64 v[81:84], v0 offset0:77 offset1:152
	v_add_nc_u32_e32 v0, 0xc00, v138
	ds_read_b64 v[136:137], v138 offset:6440
	ds_read2_b64 v[4:7], v1 offset0:99 offset1:174
	ds_read2_b64 v[8:11], v0 offset0:121 offset1:196
	;; [unrolled: 1-line block ×3, first 2 shown]
	s_waitcnt lgkmcnt(5)
	v_mov_b32_e32 v74, v77
	v_mov_b32_e32 v75, v78
	s_waitcnt lgkmcnt(4)
	v_mov_b32_e32 v76, v83
	v_mov_b32_e32 v77, v84
.LBB0_11:
	s_or_b32 exec_lo, exec_lo, s0
	s_waitcnt lgkmcnt(5)
	v_add_f32_e32 v78, v101, v103
	v_add_f32_e32 v83, v102, v104
	s_waitcnt lgkmcnt(0)
	v_sub_f32_e32 v146, v104, v73
	v_add_f32_e32 v104, v73, v104
	v_add_f32_e32 v84, v72, v103
	;; [unrolled: 1-line block ×4, first 2 shown]
	v_sub_f32_e32 v103, v103, v72
	v_mul_f32_e32 v150, 0x3ed4b147, v104
	v_mul_f32_e32 v151, 0xbf7d64f0, v146
	v_add_f32_e32 v78, v78, v95
	v_add_f32_e32 v83, v83, v96
	v_mul_f32_e32 v147, 0xbf0a6770, v146
	v_fmamk_f32 v156, v103, 0x3f68dda4, v150
	v_fmac_f32_e32 v150, 0xbf68dda4, v103
	v_add_f32_e32 v78, v78, v85
	v_add_f32_e32 v83, v83, v86
	v_fmamk_f32 v157, v84, 0xbe11bafb, v151
	v_mul_f32_e32 v148, 0x3f575c64, v104
	v_mul_f32_e32 v149, 0xbf68dda4, v146
	v_add_f32_e32 v78, v78, v87
	v_add_f32_e32 v83, v83, v88
	v_mul_f32_e32 v152, 0xbe11bafb, v104
	v_mul_f32_e32 v158, 0xbf27a4f4, v104
	;; [unrolled: 1-line block ×3, first 2 shown]
	v_add_f32_e32 v78, v78, v89
	v_add_f32_e32 v83, v83, v90
	v_sub_f32_e32 v162, v94, v100
	v_add_f32_e32 v94, v100, v94
	v_fmamk_f32 v153, v84, 0x3f575c64, v147
	v_add_f32_e32 v78, v78, v91
	v_add_f32_e32 v83, v83, v92
	v_fmamk_f32 v154, v103, 0x3f0a6770, v148
	v_fma_f32 v147, 0x3f575c64, v84, -v147
	v_fmac_f32_e32 v148, 0xbf0a6770, v103
	v_add_f32_e32 v78, v78, v97
	v_add_f32_e32 v83, v83, v98
	v_fmamk_f32 v155, v84, 0x3ed4b147, v149
	v_fma_f32 v149, 0x3ed4b147, v84, -v149
	v_fma_f32 v151, 0xbe11bafb, v84, -v151
	v_add_f32_e32 v78, v78, v99
	v_add_f32_e32 v83, v83, v100
	v_fmamk_f32 v160, v103, 0x3f4178ce, v158
	v_fmac_f32_e32 v158, 0xbf4178ce, v103
	v_fmamk_f32 v163, v103, 0x3e903f40, v104
	v_add_f32_e32 v72, v78, v72
	v_add_f32_e32 v78, v102, v150
	;; [unrolled: 1-line block ×3, first 2 shown]
	v_mul_f32_e32 v157, 0xbf4178ce, v146
	v_mul_f32_e32 v146, 0xbe903f40, v146
	v_add_f32_e32 v73, v83, v73
	v_fmamk_f32 v83, v103, 0x3f7d64f0, v152
	v_fmac_f32_e32 v152, 0xbf7d64f0, v103
	v_fmamk_f32 v159, v84, 0xbf27a4f4, v157
	v_fma_f32 v157, 0xbf27a4f4, v84, -v157
	v_fmamk_f32 v161, v84, 0xbf75a155, v146
	v_fma_f32 v84, 0xbf75a155, v84, -v146
	v_add_f32_e32 v100, v99, v93
	v_mul_f32_e32 v146, 0xbf68dda4, v162
	v_fmac_f32_e32 v104, 0xbe903f40, v103
	v_sub_f32_e32 v93, v93, v99
	v_mul_f32_e32 v99, 0x3ed4b147, v94
	v_add_f32_e32 v153, v101, v153
	v_add_f32_e32 v154, v102, v154
	v_add_f32_e32 v147, v101, v147
	v_add_f32_e32 v148, v102, v148
	v_add_f32_e32 v155, v101, v155
	v_add_f32_e32 v156, v102, v156
	v_add_f32_e32 v149, v101, v149
	v_add_f32_e32 v83, v102, v83
	v_add_f32_e32 v151, v101, v151
	v_add_f32_e32 v152, v102, v152
	v_add_f32_e32 v159, v101, v159
	v_add_f32_e32 v160, v102, v160
	v_add_f32_e32 v157, v101, v157
	v_add_f32_e32 v158, v102, v158
	v_add_f32_e32 v161, v101, v161
	v_add_f32_e32 v103, v102, v163
	v_fmamk_f32 v163, v100, 0x3ed4b147, v146
	v_add_f32_e32 v84, v101, v84
	v_add_f32_e32 v101, v102, v104
	v_fmamk_f32 v102, v93, 0x3f68dda4, v99
	v_mul_f32_e32 v104, 0xbf4178ce, v162
	v_fma_f32 v146, 0x3ed4b147, v100, -v146
	v_fmac_f32_e32 v99, 0xbf68dda4, v93
	v_add_f32_e32 v153, v163, v153
	v_add_f32_e32 v102, v102, v154
	v_fmamk_f32 v154, v100, 0xbf27a4f4, v104
	v_add_f32_e32 v146, v146, v147
	v_mul_f32_e32 v147, 0x3e903f40, v162
	v_mul_f32_e32 v163, 0xbf27a4f4, v94
	v_add_f32_e32 v99, v99, v148
	v_add_f32_e32 v148, v154, v155
	v_fma_f32 v104, 0xbf27a4f4, v100, -v104
	v_fmamk_f32 v155, v100, 0xbf75a155, v147
	v_mul_f32_e32 v164, 0xbf75a155, v94
	v_fmamk_f32 v154, v93, 0x3f4178ce, v163
	v_fma_f32 v147, 0xbf75a155, v100, -v147
	v_add_f32_e32 v104, v104, v149
	v_add_f32_e32 v149, v155, v150
	v_fmamk_f32 v150, v93, 0xbe903f40, v164
	v_mul_f32_e32 v155, 0x3f7d64f0, v162
	v_add_f32_e32 v154, v154, v156
	v_mul_f32_e32 v156, 0xbe11bafb, v94
	v_mul_f32_e32 v162, 0x3f0a6770, v162
	v_add_f32_e32 v83, v150, v83
	v_fmamk_f32 v150, v100, 0xbe11bafb, v155
	v_fma_f32 v155, 0xbe11bafb, v100, -v155
	v_add_f32_e32 v147, v147, v151
	v_fmamk_f32 v151, v93, 0xbf7d64f0, v156
	v_fmac_f32_e32 v156, 0x3f7d64f0, v93
	v_add_f32_e32 v150, v150, v159
	v_fmamk_f32 v159, v100, 0x3f575c64, v162
	v_add_f32_e32 v155, v155, v157
	v_sub_f32_e32 v157, v96, v98
	v_add_f32_e32 v151, v151, v160
	v_mul_f32_e32 v94, 0x3f575c64, v94
	v_add_f32_e32 v156, v156, v158
	v_add_f32_e32 v158, v159, v161
	;; [unrolled: 1-line block ×3, first 2 shown]
	v_mul_f32_e32 v161, 0xbf7d64f0, v157
	v_add_f32_e32 v96, v98, v96
	v_fmac_f32_e32 v163, 0xbf4178ce, v93
	v_fmac_f32_e32 v164, 0x3e903f40, v93
	v_fmamk_f32 v159, v93, 0xbf0a6770, v94
	v_fma_f32 v98, 0x3f575c64, v100, -v162
	v_fmac_f32_e32 v94, 0x3f0a6770, v93
	v_sub_f32_e32 v93, v95, v97
	v_fmamk_f32 v95, v160, 0xbe11bafb, v161
	v_mul_f32_e32 v97, 0xbe11bafb, v96
	v_add_f32_e32 v100, v159, v103
	v_add_f32_e32 v84, v98, v84
	;; [unrolled: 1-line block ×4, first 2 shown]
	v_fmamk_f32 v98, v93, 0x3f7d64f0, v97
	v_mul_f32_e32 v101, 0x3e903f40, v157
	v_fma_f32 v103, 0xbe11bafb, v160, -v161
	v_fmac_f32_e32 v97, 0xbf7d64f0, v93
	v_mul_f32_e32 v153, 0xbf75a155, v96
	v_add_f32_e32 v98, v98, v102
	v_fmamk_f32 v102, v160, 0xbf75a155, v101
	v_add_f32_e32 v103, v103, v146
	v_add_f32_e32 v97, v97, v99
	v_fmamk_f32 v99, v93, 0xbe903f40, v153
	v_mul_f32_e32 v146, 0x3f68dda4, v157
	v_fma_f32 v101, 0xbf75a155, v160, -v101
	v_add_f32_e32 v78, v163, v78
	v_add_f32_e32 v102, v102, v148
	v_fmac_f32_e32 v153, 0x3e903f40, v93
	v_add_f32_e32 v99, v99, v154
	v_fmamk_f32 v148, v160, 0x3ed4b147, v146
	v_mul_f32_e32 v154, 0x3ed4b147, v96
	v_add_f32_e32 v101, v101, v104
	v_mul_f32_e32 v104, 0xbf0a6770, v157
	v_add_f32_e32 v152, v164, v152
	v_add_f32_e32 v78, v153, v78
	;; [unrolled: 1-line block ×3, first 2 shown]
	v_fmamk_f32 v149, v93, 0xbf68dda4, v154
	v_fma_f32 v146, 0x3ed4b147, v160, -v146
	v_fmac_f32_e32 v154, 0x3f68dda4, v93
	v_fmamk_f32 v153, v160, 0x3f575c64, v104
	v_mul_f32_e32 v159, 0x3f575c64, v96
	v_mul_f32_e32 v96, 0xbf27a4f4, v96
	v_fma_f32 v104, 0x3f575c64, v160, -v104
	v_add_f32_e32 v83, v149, v83
	v_add_f32_e32 v146, v146, v147
	;; [unrolled: 1-line block ×4, first 2 shown]
	v_fmamk_f32 v150, v93, 0x3f0a6770, v159
	v_mul_f32_e32 v152, 0xbf4178ce, v157
	v_fmamk_f32 v153, v93, 0x3f4178ce, v96
	v_add_f32_e32 v104, v104, v155
	v_sub_f32_e32 v155, v86, v92
	v_add_f32_e32 v86, v92, v86
	v_add_f32_e32 v150, v150, v151
	v_fmamk_f32 v151, v160, 0xbf27a4f4, v152
	v_add_f32_e32 v100, v153, v100
	v_add_f32_e32 v153, v91, v85
	v_mul_f32_e32 v92, 0xbf4178ce, v155
	v_fma_f32 v152, 0xbf27a4f4, v160, -v152
	v_fmac_f32_e32 v96, 0xbf4178ce, v93
	v_sub_f32_e32 v85, v85, v91
	v_mul_f32_e32 v91, 0xbf27a4f4, v86
	v_fmac_f32_e32 v159, 0xbf0a6770, v93
	v_fmamk_f32 v93, v153, 0xbf27a4f4, v92
	v_add_f32_e32 v84, v152, v84
	v_add_f32_e32 v94, v96, v94
	v_mul_f32_e32 v96, 0x3f7d64f0, v155
	v_fmamk_f32 v152, v85, 0x3f4178ce, v91
	v_fmac_f32_e32 v91, 0xbf4178ce, v85
	v_add_f32_e32 v93, v93, v95
	v_fma_f32 v92, 0xbf27a4f4, v153, -v92
	v_fmamk_f32 v95, v153, 0xbe11bafb, v96
	v_add_f32_e32 v98, v152, v98
	v_mul_f32_e32 v152, 0xbe11bafb, v86
	v_add_f32_e32 v91, v91, v97
	v_mul_f32_e32 v97, 0xbf0a6770, v155
	v_add_f32_e32 v154, v159, v156
	v_add_f32_e32 v92, v92, v103
	;; [unrolled: 1-line block ×3, first 2 shown]
	v_fmamk_f32 v102, v85, 0xbf7d64f0, v152
	v_fma_f32 v96, 0xbe11bafb, v153, -v96
	v_mul_f32_e32 v103, 0x3f575c64, v86
	v_fmamk_f32 v156, v153, 0x3f575c64, v97
	v_fmac_f32_e32 v152, 0x3f7d64f0, v85
	v_add_f32_e32 v99, v102, v99
	v_add_f32_e32 v96, v96, v101
	v_fmamk_f32 v101, v85, 0x3f0a6770, v103
	v_add_f32_e32 v102, v156, v148
	v_mul_f32_e32 v148, 0xbe903f40, v155
	v_fma_f32 v97, 0x3f575c64, v153, -v97
	v_add_f32_e32 v78, v152, v78
	v_fmac_f32_e32 v103, 0xbf0a6770, v85
	v_add_f32_e32 v101, v101, v83
	v_mul_f32_e32 v83, 0xbf75a155, v86
	v_fmamk_f32 v152, v153, 0xbf75a155, v148
	v_add_f32_e32 v97, v97, v146
	v_mul_f32_e32 v146, 0x3f68dda4, v155
	v_add_f32_e32 v151, v151, v158
	v_add_f32_e32 v103, v103, v147
	v_fmamk_f32 v147, v85, 0x3e903f40, v83
	v_add_f32_e32 v149, v152, v149
	v_fmamk_f32 v152, v153, 0x3ed4b147, v146
	v_fma_f32 v148, 0xbf75a155, v153, -v148
	v_fmac_f32_e32 v83, 0xbe903f40, v85
	v_add_f32_e32 v147, v147, v150
	v_mul_f32_e32 v86, 0x3ed4b147, v86
	v_add_f32_e32 v150, v152, v151
	v_sub_f32_e32 v151, v88, v90
	v_add_f32_e32 v152, v90, v88
	v_add_f32_e32 v104, v148, v104
	;; [unrolled: 1-line block ×3, first 2 shown]
	v_fmamk_f32 v83, v85, 0xbf68dda4, v86
	v_fma_f32 v146, 0x3ed4b147, v153, -v146
	v_add_f32_e32 v153, v89, v87
	v_mul_f32_e32 v88, 0xbe903f40, v151
	v_sub_f32_e32 v154, v87, v89
	v_mul_f32_e32 v87, 0xbf75a155, v152
	v_mul_f32_e32 v89, 0x3f0a6770, v151
	v_fmac_f32_e32 v86, 0x3f68dda4, v85
	v_add_f32_e32 v100, v83, v100
	v_fmamk_f32 v83, v153, 0xbf75a155, v88
	v_add_f32_e32 v146, v146, v84
	v_fmamk_f32 v84, v154, 0x3e903f40, v87
	v_fma_f32 v85, 0xbf75a155, v153, -v88
	v_fmac_f32_e32 v87, 0xbe903f40, v154
	v_fmamk_f32 v88, v153, 0x3f575c64, v89
	v_mul_f32_e32 v90, 0x3f575c64, v152
	v_add_f32_e32 v155, v86, v94
	v_mul_f32_e32 v94, 0xbf27a4f4, v152
	v_add_f32_e32 v86, v87, v91
	v_add_f32_e32 v87, v88, v95
	v_fmamk_f32 v88, v154, 0xbf0a6770, v90
	v_fmac_f32_e32 v90, 0x3f0a6770, v154
	v_add_f32_e32 v85, v85, v92
	v_mul_f32_e32 v92, 0xbf4178ce, v151
	v_mul_f32_e32 v95, 0x3f68dda4, v151
	v_add_f32_e32 v83, v83, v93
	v_add_f32_e32 v90, v90, v78
	v_fmamk_f32 v78, v154, 0x3f4178ce, v94
	v_fmamk_f32 v91, v153, 0xbf27a4f4, v92
	v_fma_f32 v93, 0xbf27a4f4, v153, -v92
	v_add_f32_e32 v84, v84, v98
	v_fma_f32 v89, 0x3f575c64, v153, -v89
	v_add_f32_e32 v92, v78, v101
	v_fmamk_f32 v78, v153, 0x3ed4b147, v95
	v_add_f32_e32 v91, v91, v102
	v_mul_f32_e32 v98, 0x3ed4b147, v152
	v_add_f32_e32 v93, v93, v97
	v_fma_f32 v97, 0x3ed4b147, v153, -v95
	v_add_f32_e32 v95, v78, v149
	v_mul_f32_e32 v78, 0xbf7d64f0, v151
	v_mul_f32_e32 v102, 0xbe11bafb, v152
	v_add_f32_e32 v88, v88, v99
	v_add_f32_e32 v89, v89, v96
	v_fmamk_f32 v96, v154, 0xbf68dda4, v98
	v_fmamk_f32 v99, v153, 0xbe11bafb, v78
	;; [unrolled: 1-line block ×3, first 2 shown]
	v_fmac_f32_e32 v98, 0x3f68dda4, v154
	v_fma_f32 v78, 0xbe11bafb, v153, -v78
	v_fmac_f32_e32 v102, 0xbf7d64f0, v154
	v_fmac_f32_e32 v94, 0xbf4178ce, v154
	v_add_f32_e32 v96, v96, v147
	v_add_f32_e32 v99, v99, v150
	;; [unrolled: 1-line block ×8, first 2 shown]
	s_barrier
	buffer_gl0_inv
	ds_write2_b64 v144, v[72:73], v[83:84] offset1:1
	ds_write2_b64 v144, v[87:88], v[91:92] offset0:2 offset1:3
	ds_write2_b64 v144, v[95:96], v[99:100] offset0:4 offset1:5
	;; [unrolled: 1-line block ×4, first 2 shown]
	ds_write_b64 v144, v[85:86] offset:80
	s_and_saveexec_b32 s0, vcc_lo
	s_cbranch_execz .LBB0_13
; %bb.12:
	v_add_f32_e32 v78, v137, v80
	v_sub_f32_e32 v89, v79, v136
	v_add_f32_e32 v85, v3, v82
	v_sub_f32_e32 v90, v81, v2
	v_add_f32_e32 v87, v1, v77
	v_mul_f32_e32 v91, 0xbf75a155, v78
	v_sub_f32_e32 v97, v80, v137
	v_mul_f32_e32 v95, 0x3f575c64, v85
	v_sub_f32_e32 v92, v76, v0
	v_add_f32_e32 v96, v136, v79
	v_fmamk_f32 v72, v89, 0x3e903f40, v91
	v_mul_f32_e32 v98, 0xbf27a4f4, v87
	v_fmamk_f32 v73, v90, 0xbf0a6770, v95
	v_sub_f32_e32 v99, v82, v3
	v_mul_f32_e32 v101, 0xbe903f40, v97
	v_add_f32_e32 v72, v75, v72
	v_add_f32_e32 v93, v11, v5
	v_fmamk_f32 v83, v92, 0x3f4178ce, v98
	v_add_f32_e32 v102, v2, v81
	v_mul_f32_e32 v103, 0x3f0a6770, v99
	v_add_f32_e32 v72, v73, v72
	v_fmamk_f32 v73, v96, 0xbf75a155, v101
	v_sub_f32_e32 v104, v77, v1
	v_sub_f32_e32 v94, v4, v10
	v_mul_f32_e32 v100, 0x3ed4b147, v93
	v_add_f32_e32 v72, v83, v72
	v_add_f32_e32 v144, v9, v7
	;; [unrolled: 1-line block ×3, first 2 shown]
	v_fmamk_f32 v83, v102, 0x3f575c64, v103
	v_add_f32_e32 v146, v0, v76
	v_mul_f32_e32 v147, 0xbf4178ce, v104
	v_sub_f32_e32 v149, v5, v11
	v_fmamk_f32 v84, v94, 0xbf68dda4, v100
	v_mul_f32_e32 v148, 0xbe11bafb, v144
	v_sub_f32_e32 v150, v6, v8
	v_add_f32_e32 v73, v83, v73
	v_fmamk_f32 v83, v146, 0xbf27a4f4, v147
	v_add_f32_e32 v151, v10, v4
	v_mul_f32_e32 v152, 0x3f68dda4, v149
	v_add_f32_e32 v72, v84, v72
	v_fmamk_f32 v84, v150, 0x3f7d64f0, v148
	v_add_f32_e32 v83, v83, v73
	v_mul_f32_e32 v153, 0xbf27a4f4, v78
	v_fmamk_f32 v86, v151, 0x3ed4b147, v152
	v_mul_f32_e32 v155, 0xbe11bafb, v85
	v_add_f32_e32 v73, v84, v72
	v_mul_f32_e32 v158, 0xbf4178ce, v97
	v_mul_f32_e32 v159, 0x3f575c64, v87
	v_add_f32_e32 v72, v86, v83
	v_fmamk_f32 v83, v89, 0x3f4178ce, v153
	v_fmamk_f32 v84, v90, 0xbf7d64f0, v155
	;; [unrolled: 1-line block ×3, first 2 shown]
	v_mul_f32_e32 v160, 0x3f7d64f0, v99
	v_mul_f32_e32 v161, 0xbf75a155, v93
	v_add_f32_e32 v83, v75, v83
	v_sub_f32_e32 v154, v7, v9
	v_add_f32_e32 v88, v74, v88
	v_fmamk_f32 v162, v102, 0xbe11bafb, v160
	v_mul_f32_e32 v163, 0xbf0a6770, v104
	v_add_f32_e32 v83, v84, v83
	v_fmamk_f32 v84, v92, 0x3f0a6770, v159
	v_mul_f32_e32 v164, 0x3ed4b147, v144
	v_add_f32_e32 v156, v8, v6
	v_mul_f32_e32 v157, 0xbf7d64f0, v154
	v_add_f32_e32 v88, v162, v88
	v_add_f32_e32 v83, v84, v83
	v_fmamk_f32 v84, v94, 0x3e903f40, v161
	v_fmamk_f32 v162, v146, 0x3f575c64, v163
	v_mul_f32_e32 v165, 0xbe903f40, v149
	v_mul_f32_e32 v166, 0xbe11bafb, v78
	v_fmamk_f32 v86, v156, 0xbe11bafb, v157
	v_add_f32_e32 v83, v84, v83
	v_fmamk_f32 v84, v150, 0xbf68dda4, v164
	v_add_f32_e32 v88, v162, v88
	v_fmamk_f32 v162, v151, 0xbf75a155, v165
	v_mul_f32_e32 v167, 0xbf75a155, v85
	v_mul_f32_e32 v168, 0xbf7d64f0, v97
	v_add_f32_e32 v84, v84, v83
	v_fmamk_f32 v83, v89, 0x3f7d64f0, v166
	v_add_f32_e32 v72, v86, v72
	v_add_f32_e32 v86, v162, v88
	v_fmamk_f32 v88, v90, 0xbe903f40, v167
	v_mul_f32_e32 v169, 0x3ed4b147, v87
	v_add_f32_e32 v83, v75, v83
	v_fmamk_f32 v171, v96, 0xbe11bafb, v168
	v_mul_f32_e32 v172, 0x3e903f40, v99
	v_mul_f32_e32 v173, 0x3f575c64, v93
	;; [unrolled: 1-line block ×3, first 2 shown]
	v_add_f32_e32 v83, v88, v83
	v_fmamk_f32 v88, v92, 0xbf68dda4, v169
	v_add_f32_e32 v171, v74, v171
	v_fmamk_f32 v174, v102, 0xbf75a155, v172
	v_mul_f32_e32 v162, 0x3f68dda4, v154
	v_mul_f32_e32 v176, 0xbf27a4f4, v144
	v_add_f32_e32 v83, v88, v83
	v_fmamk_f32 v88, v94, 0x3f0a6770, v173
	v_add_f32_e32 v171, v174, v171
	v_fmamk_f32 v174, v146, 0x3ed4b147, v175
	v_mul_f32_e32 v177, 0xbf0a6770, v149
	v_fmamk_f32 v170, v156, 0x3ed4b147, v162
	v_add_f32_e32 v88, v88, v83
	v_mul_f32_e32 v178, 0x3ed4b147, v78
	v_fmamk_f32 v179, v150, 0x3f4178ce, v176
	v_add_f32_e32 v171, v174, v171
	v_fmamk_f32 v174, v151, 0x3f575c64, v177
	v_add_f32_e32 v83, v170, v86
	v_fmamk_f32 v170, v89, 0x3f68dda4, v178
	v_mul_f32_e32 v180, 0xbf27a4f4, v85
	v_add_f32_e32 v86, v179, v88
	v_add_f32_e32 v88, v174, v171
	v_mul_f32_e32 v171, 0xbf68dda4, v97
	v_add_f32_e32 v80, v80, v75
	v_add_f32_e32 v79, v79, v74
	v_add_f32_e32 v170, v75, v170
	v_fmamk_f32 v174, v90, 0x3f4178ce, v180
	v_mul_f32_e32 v179, 0xbf75a155, v87
	v_fmamk_f32 v182, v96, 0x3ed4b147, v171
	v_mul_f32_e32 v183, 0xbf4178ce, v99
	v_add_f32_e32 v80, v82, v80
	v_add_f32_e32 v79, v81, v79
	v_add_f32_e32 v170, v174, v170
	v_fmamk_f32 v174, v92, 0xbe903f40, v179
	v_mul_f32_e32 v184, 0xbe11bafb, v93
	v_add_f32_e32 v182, v74, v182
	v_fmamk_f32 v185, v102, 0xbf27a4f4, v183
	v_mul_f32_e32 v186, 0x3e903f40, v104
	v_add_f32_e32 v77, v77, v80
	v_add_f32_e32 v76, v76, v79
	;; [unrolled: 1-line block ×3, first 2 shown]
	v_fmamk_f32 v174, v94, 0xbf7d64f0, v184
	v_add_f32_e32 v182, v185, v182
	v_fmamk_f32 v185, v146, 0xbf75a155, v186
	v_mul_f32_e32 v188, 0x3f7d64f0, v149
	v_mul_f32_e32 v78, 0x3f575c64, v78
	;; [unrolled: 1-line block ×3, first 2 shown]
	v_add_f32_e32 v5, v5, v77
	v_add_f32_e32 v4, v4, v76
	v_mul_f32_e32 v181, 0xbf4178ce, v154
	v_add_f32_e32 v170, v174, v170
	v_mul_f32_e32 v174, 0x3f575c64, v144
	v_add_f32_e32 v182, v185, v182
	v_fmamk_f32 v185, v151, 0xbe11bafb, v188
	v_mul_f32_e32 v189, 0x3f0a6770, v154
	v_fmamk_f32 v190, v89, 0x3f0a6770, v78
	v_mul_f32_e32 v191, 0x3ed4b147, v85
	;; [unrolled: 2-line block ×3, first 2 shown]
	v_add_f32_e32 v5, v7, v5
	v_add_f32_e32 v4, v6, v4
	v_fmamk_f32 v187, v156, 0xbf27a4f4, v181
	v_fmamk_f32 v192, v150, 0xbf0a6770, v174
	v_add_f32_e32 v182, v185, v182
	v_fmamk_f32 v185, v156, 0x3f575c64, v189
	v_add_f32_e32 v190, v75, v190
	v_fmamk_f32 v193, v90, 0x3f68dda4, v191
	v_mul_f32_e32 v194, 0xbe11bafb, v87
	v_add_f32_e32 v79, v74, v81
	v_fmamk_f32 v80, v102, 0x3ed4b147, v82
	v_mul_f32_e32 v81, 0xbf7d64f0, v104
	v_add_f32_e32 v5, v9, v5
	v_add_f32_e32 v4, v8, v4
	v_fmac_f32_e32 v91, 0xbe903f40, v89
	v_add_f32_e32 v85, v187, v88
	v_add_f32_e32 v88, v192, v170
	;; [unrolled: 1-line block ×4, first 2 shown]
	v_fmamk_f32 v182, v92, 0x3f7d64f0, v194
	v_mul_f32_e32 v93, 0xbf27a4f4, v93
	v_add_f32_e32 v77, v80, v79
	v_fmamk_f32 v79, v146, 0xbe11bafb, v81
	v_mul_f32_e32 v80, 0xbf4178ce, v149
	v_add_f32_e32 v5, v11, v5
	v_add_f32_e32 v4, v10, v4
	;; [unrolled: 1-line block ×3, first 2 shown]
	v_fmac_f32_e32 v95, 0x3f0a6770, v90
	v_add_f32_e32 v170, v182, v170
	v_fmamk_f32 v182, v94, 0x3f4178ce, v93
	v_mul_f32_e32 v76, 0xbf75a155, v144
	v_add_f32_e32 v7, v79, v77
	v_fmamk_f32 v8, v151, 0xbf27a4f4, v80
	v_mul_f32_e32 v77, 0xbe903f40, v154
	v_add_f32_e32 v5, v1, v5
	v_add_f32_e32 v4, v0, v4
	;; [unrolled: 1-line block ×3, first 2 shown]
	v_fmac_f32_e32 v98, 0xbf4178ce, v92
	v_add_f32_e32 v99, v182, v170
	v_fmamk_f32 v6, v150, 0x3e903f40, v76
	v_add_f32_e32 v7, v8, v7
	v_fmamk_f32 v8, v156, 0xbf75a155, v77
	v_add_f32_e32 v3, v3, v5
	v_add_f32_e32 v2, v2, v4
	;; [unrolled: 1-line block ×3, first 2 shown]
	v_fmac_f32_e32 v100, 0x3f68dda4, v94
	v_fma_f32 v5, 0xbf75a155, v96, -v101
	v_add_f32_e32 v1, v6, v99
	v_add_f32_e32 v0, v8, v7
	v_fmac_f32_e32 v153, 0xbf4178ce, v89
	v_add_f32_e32 v4, v100, v4
	v_fmac_f32_e32 v148, 0xbf7d64f0, v150
	v_add_f32_e32 v6, v74, v5
	v_fma_f32 v7, 0x3f575c64, v102, -v103
	v_add_f32_e32 v8, v75, v153
	v_fmac_f32_e32 v155, 0x3f7d64f0, v90
	v_add_f32_e32 v5, v148, v4
	v_fma_f32 v4, 0xbf27a4f4, v96, -v158
	v_add_f32_e32 v6, v7, v6
	v_fma_f32 v7, 0xbf27a4f4, v146, -v147
	v_add_f32_e32 v8, v155, v8
	v_fmac_f32_e32 v159, 0xbf0a6770, v92
	v_add_f32_e32 v4, v74, v4
	v_fma_f32 v9, 0xbe11bafb, v102, -v160
	;; [unrolled: 6-line block ×5, first 2 shown]
	v_add_f32_e32 v6, v74, v6
	v_fmac_f32_e32 v180, 0xbf4178ce, v90
	v_add_f32_e32 v79, v75, v178
	v_fmac_f32_e32 v179, 0x3e903f40, v92
	v_fma_f32 v11, 0x3ed4b147, v156, -v162
	v_add_f32_e32 v6, v10, v6
	v_fma_f32 v10, 0x3ed4b147, v146, -v175
	v_add_f32_e32 v79, v180, v79
	v_fma_f32 v91, 0xbf27a4f4, v156, -v181
	v_fmac_f32_e32 v184, 0x3f7d64f0, v94
	v_fmac_f32_e32 v166, 0xbf7d64f0, v89
	v_add_f32_e32 v6, v10, v6
	v_fma_f32 v10, 0x3f575c64, v151, -v177
	v_add_f32_e32 v79, v179, v79
	v_fmac_f32_e32 v78, 0xbf0a6770, v89
	v_add_f32_e32 v9, v75, v166
	v_fmac_f32_e32 v167, 0x3e903f40, v90
	v_add_f32_e32 v10, v10, v6
	v_add_f32_e32 v6, v11, v8
	;; [unrolled: 1-line block ×3, first 2 shown]
	v_fma_f32 v79, 0x3f575c64, v96, -v97
	v_fma_f32 v89, 0xbf27a4f4, v102, -v183
	v_add_f32_e32 v8, v91, v10
	v_fma_f32 v10, 0x3ed4b147, v96, -v171
	v_add_f32_e32 v75, v75, v78
	v_fmac_f32_e32 v191, 0xbf68dda4, v90
	v_fma_f32 v78, 0x3ed4b147, v102, -v82
	v_add_f32_e32 v9, v167, v9
	v_add_f32_e32 v10, v74, v10
	v_add_f32_e32 v74, v74, v79
	v_fmac_f32_e32 v169, 0x3f68dda4, v92
	v_fma_f32 v79, 0xbf75a155, v146, -v186
	v_add_f32_e32 v75, v191, v75
	v_add_f32_e32 v10, v89, v10
	v_fmac_f32_e32 v194, 0xbf7d64f0, v92
	v_add_f32_e32 v74, v78, v74
	v_fma_f32 v78, 0xbe11bafb, v146, -v81
	v_add_f32_e32 v9, v169, v9
	v_fmac_f32_e32 v173, 0xbf0a6770, v94
	v_add_f32_e32 v10, v79, v10
	v_fma_f32 v79, 0xbe11bafb, v151, -v188
	;; [unrolled: 4-line block ×3, first 2 shown]
	v_add_f32_e32 v9, v173, v9
	v_fmac_f32_e32 v176, 0xbf4178ce, v150
	v_fmac_f32_e32 v174, 0x3f0a6770, v150
	v_add_f32_e32 v10, v79, v10
	v_fma_f32 v79, 0x3f575c64, v156, -v189
	v_add_f32_e32 v3, v137, v3
	v_add_f32_e32 v2, v136, v2
	v_add_f32_e32 v75, v93, v75
	v_fmac_f32_e32 v76, 0xbe903f40, v150
	v_add_f32_e32 v74, v78, v74
	v_fma_f32 v77, 0xbf75a155, v156, -v77
	v_lshlrev_b32_e32 v78, 3, v140
	v_add_f32_e32 v9, v176, v9
	v_add_f32_e32 v11, v174, v11
	;; [unrolled: 1-line block ×5, first 2 shown]
	ds_write2_b64 v78, v[2:3], v[0:1] offset1:1
	ds_write2_b64 v78, v[87:88], v[85:86] offset0:2 offset1:3
	ds_write2_b64 v78, v[83:84], v[72:73] offset0:4 offset1:5
	ds_write2_b64 v78, v[4:5], v[6:7] offset0:6 offset1:7
	ds_write2_b64 v78, v[8:9], v[10:11] offset0:8 offset1:9
	ds_write_b64 v78, v[74:75] offset:80
.LBB0_13:
	s_or_b32 exec_lo, exec_lo, s0
	s_waitcnt lgkmcnt(0)
	s_barrier
	buffer_gl0_inv
	ds_read2_b64 v[5:8], v138 offset0:110 offset1:165
	v_add_nc_u32_e32 v3, 0x800, v138
	v_add_nc_u32_e32 v2, 0x1000, v138
	;; [unrolled: 1-line block ×3, first 2 shown]
	s_mov_b32 s4, 0x3dc013dc
	s_mov_b32 s5, 0x3f53dc01
	ds_read2_b64 v[72:75], v3 offset0:74 offset1:129
	ds_read2_b64 v[76:79], v3 offset0:184 offset1:239
	ds_read2_b64 v[80:83], v2 offset0:148 offset1:203
	ds_read2_b64 v[84:87], v4 offset0:92 offset1:147
	ds_read2_b64 v[88:91], v138 offset1:55
	ds_read_b64 v[0:1], v138 offset:6160
	ds_read2_b64 v[92:95], v2 offset0:38 offset1:93
	s_waitcnt lgkmcnt(0)
	s_barrier
	buffer_gl0_inv
	s_mul_hi_u32 s1, s8, 0x4b
	v_mul_f32_e32 v10, v33, v8
	v_mul_f32_e32 v9, v33, v7
	v_fmac_f32_e32 v10, v32, v7
	v_fma_f32 v32, v32, v8, -v9
	v_mul_f32_e32 v33, v35, v73
	v_mul_f32_e32 v7, v35, v72
	;; [unrolled: 1-line block ×8, first 2 shown]
	v_fmac_f32_e32 v33, v34, v72
	v_fma_f32 v25, v34, v73, -v7
	v_fmac_f32_e32 v35, v28, v78
	v_fma_f32 v28, v28, v79, -v8
	v_mul_f32_e32 v34, v27, v75
	v_mul_f32_e32 v7, v27, v74
	;; [unrolled: 1-line block ×3, first 2 shown]
	v_fmac_f32_e32 v29, v30, v80
	v_fma_f32 v30, v30, v81, -v9
	v_fmac_f32_e32 v34, v26, v74
	v_fma_f32 v26, v26, v75, -v7
	v_fma_f32 v73, v16, v93, -v8
	v_mul_f32_e32 v8, v21, v86
	v_mul_f32_e32 v75, v23, v77
	;; [unrolled: 1-line block ×5, first 2 shown]
	v_fma_f32 v78, v20, v87, -v8
	v_fmac_f32_e32 v75, v22, v76
	v_fma_f32 v76, v22, v77, -v9
	v_mul_f32_e32 v8, v13, v94
	v_add_f32_e32 v9, v88, v10
	v_fma_f32 v23, v18, v83, -v7
	v_add_f32_e32 v7, v33, v35
	v_mul_f32_e32 v77, v13, v95
	v_mul_f32_e32 v79, v15, v1
	v_fma_f32 v80, v12, v95, -v8
	v_add_f32_e32 v8, v9, v33
	v_add_f32_e32 v17, v10, v29
	v_fmac_f32_e32 v31, v24, v84
	v_fma_f32 v24, v24, v85, -v11
	v_mul_f32_e32 v72, v19, v83
	v_fmac_f32_e32 v27, v16, v92
	v_fma_f32 v7, -0.5, v7, v88
	v_sub_f32_e32 v16, v32, v30
	v_fmac_f32_e32 v77, v12, v94
	v_fmac_f32_e32 v79, v14, v0
	v_sub_f32_e32 v12, v25, v28
	v_sub_f32_e32 v11, v10, v33
	;; [unrolled: 1-line block ×3, first 2 shown]
	v_mul_f32_e32 v15, v15, v0
	v_add_f32_e32 v8, v8, v35
	v_fma_f32 v0, -0.5, v17, v88
	v_fmac_f32_e32 v72, v18, v82
	v_fmamk_f32 v9, v16, 0xbf737871, v7
	v_add_f32_e32 v18, v11, v13
	v_fma_f32 v81, v14, v1, -v15
	v_add_f32_e32 v11, v8, v29
	v_fmac_f32_e32 v7, 0x3f737871, v16
	v_fmamk_f32 v13, v12, 0x3f737871, v0
	v_sub_f32_e32 v1, v33, v10
	v_sub_f32_e32 v8, v35, v29
	v_add_f32_e32 v14, v89, v32
	v_add_f32_e32 v15, v25, v28
	v_fmac_f32_e32 v0, 0xbf737871, v12
	v_fmac_f32_e32 v9, 0xbf167918, v12
	;; [unrolled: 1-line block ×4, first 2 shown]
	v_add_f32_e32 v1, v1, v8
	v_add_f32_e32 v12, v14, v25
	v_fma_f32 v8, -0.5, v15, v89
	v_sub_f32_e32 v19, v10, v29
	v_fmac_f32_e32 v0, 0x3f167918, v16
	v_add_f32_e32 v14, v32, v30
	v_mul_f32_e32 v74, v21, v87
	v_fmac_f32_e32 v13, 0x3e9e377a, v1
	v_fmamk_f32 v10, v19, 0x3f737871, v8
	v_sub_f32_e32 v16, v33, v35
	v_sub_f32_e32 v15, v32, v25
	;; [unrolled: 1-line block ×3, first 2 shown]
	v_fmac_f32_e32 v0, 0x3e9e377a, v1
	v_fma_f32 v1, -0.5, v14, v89
	v_fmac_f32_e32 v8, 0xbf737871, v19
	v_add_f32_e32 v21, v90, v31
	v_fmac_f32_e32 v9, 0x3e9e377a, v18
	v_fmac_f32_e32 v7, 0x3e9e377a, v18
	;; [unrolled: 1-line block ×3, first 2 shown]
	v_add_f32_e32 v17, v15, v17
	v_fmamk_f32 v14, v16, 0xbf737871, v1
	v_sub_f32_e32 v15, v25, v32
	v_sub_f32_e32 v18, v28, v30
	v_fmac_f32_e32 v8, 0xbf167918, v16
	v_fmac_f32_e32 v1, 0x3f737871, v16
	v_add_f32_e32 v16, v21, v34
	v_fmac_f32_e32 v74, v20, v86
	v_add_f32_e32 v12, v12, v28
	v_add_f32_e32 v20, v34, v27
	v_fmac_f32_e32 v14, 0x3f167918, v19
	v_add_f32_e32 v18, v15, v18
	;; [unrolled: 3-line block ×3, first 2 shown]
	v_fma_f32 v15, -0.5, v20, v90
	v_sub_f32_e32 v20, v24, v23
	v_fmac_f32_e32 v14, 0x3e9e377a, v18
	v_sub_f32_e32 v22, v26, v73
	v_sub_f32_e32 v21, v31, v34
	;; [unrolled: 1-line block ×3, first 2 shown]
	v_fma_f32 v90, -0.5, v28, v90
	v_fmac_f32_e32 v1, 0x3e9e377a, v18
	v_add_f32_e32 v19, v16, v72
	v_sub_f32_e32 v16, v34, v31
	v_sub_f32_e32 v18, v27, v72
	v_add_f32_e32 v28, v91, v24
	v_add_f32_e32 v12, v12, v30
	v_fmac_f32_e32 v10, 0x3e9e377a, v17
	v_fmac_f32_e32 v8, 0x3e9e377a, v17
	v_fmamk_f32 v17, v20, 0xbf737871, v15
	v_add_f32_e32 v25, v21, v25
	v_fmac_f32_e32 v15, 0x3f737871, v20
	v_fmamk_f32 v21, v22, 0x3f737871, v90
	v_add_f32_e32 v29, v26, v73
	v_add_f32_e32 v30, v16, v18
	v_fmac_f32_e32 v90, 0xbf737871, v22
	v_add_f32_e32 v18, v28, v26
	v_fmac_f32_e32 v17, 0xbf167918, v22
	v_fmac_f32_e32 v15, 0x3f167918, v22
	v_fmac_f32_e32 v21, 0xbf167918, v20
	v_fma_f32 v16, -0.5, v29, v91
	v_sub_f32_e32 v28, v31, v72
	v_fmac_f32_e32 v90, 0x3f167918, v20
	v_add_f32_e32 v20, v18, v73
	v_add_f32_e32 v22, v24, v23
	v_fmac_f32_e32 v17, 0x3e9e377a, v25
	v_fmac_f32_e32 v15, 0x3e9e377a, v25
	v_fmamk_f32 v18, v28, 0x3f737871, v16
	v_sub_f32_e32 v25, v34, v27
	v_sub_f32_e32 v27, v24, v26
	;; [unrolled: 1-line block ×3, first 2 shown]
	v_fmac_f32_e32 v91, -0.5, v22
	v_add_f32_e32 v20, v20, v23
	v_fmac_f32_e32 v16, 0xbf737871, v28
	v_sub_f32_e32 v24, v26, v24
	v_sub_f32_e32 v23, v73, v23
	v_add_f32_e32 v26, v75, v77
	v_fmac_f32_e32 v18, 0x3f167918, v25
	v_add_f32_e32 v27, v27, v29
	v_fmamk_f32 v22, v25, 0xbf737871, v91
	v_fmac_f32_e32 v16, 0xbf167918, v25
	v_add_f32_e32 v24, v24, v23
	v_fmac_f32_e32 v91, 0x3f737871, v25
	v_add_f32_e32 v25, v5, v74
	v_fma_f32 v23, -0.5, v26, v5
	v_sub_f32_e32 v26, v78, v81
	v_fmac_f32_e32 v21, 0x3e9e377a, v30
	v_fmac_f32_e32 v90, 0x3e9e377a, v30
	v_fmac_f32_e32 v18, 0x3e9e377a, v27
	v_fmac_f32_e32 v22, 0x3f167918, v28
	v_fmac_f32_e32 v16, 0x3e9e377a, v27
	v_fmac_f32_e32 v91, 0xbf167918, v28
	v_add_f32_e32 v27, v25, v75
	v_fmamk_f32 v25, v26, 0xbf737871, v23
	v_sub_f32_e32 v28, v76, v80
	v_sub_f32_e32 v29, v74, v75
	;; [unrolled: 1-line block ×3, first 2 shown]
	v_fmac_f32_e32 v23, 0x3f737871, v26
	v_add_f32_e32 v31, v74, v79
	v_fmac_f32_e32 v25, 0xbf167918, v28
	v_fmac_f32_e32 v22, 0x3e9e377a, v24
	v_add_f32_e32 v29, v29, v30
	v_fmac_f32_e32 v23, 0x3f167918, v28
	v_fma_f32 v5, -0.5, v31, v5
	v_sub_f32_e32 v30, v75, v74
	v_sub_f32_e32 v31, v77, v79
	v_fmac_f32_e32 v91, 0x3e9e377a, v24
	v_fmac_f32_e32 v25, 0x3e9e377a, v29
	;; [unrolled: 1-line block ×3, first 2 shown]
	v_fmamk_f32 v29, v28, 0x3f737871, v5
	v_add_f32_e32 v24, v76, v80
	v_fmac_f32_e32 v5, 0xbf737871, v28
	v_add_f32_e32 v30, v30, v31
	v_add_f32_e32 v31, v78, v81
	;; [unrolled: 1-line block ×3, first 2 shown]
	v_fma_f32 v24, -0.5, v24, v6
	v_sub_f32_e32 v32, v74, v79
	v_fmac_f32_e32 v29, 0xbf167918, v26
	v_fmac_f32_e32 v5, 0x3f167918, v26
	v_sub_f32_e32 v33, v75, v77
	v_fmac_f32_e32 v6, -0.5, v31
	v_add_f32_e32 v28, v28, v76
	v_fmamk_f32 v26, v32, 0x3f737871, v24
	v_fmac_f32_e32 v29, 0x3e9e377a, v30
	v_fmac_f32_e32 v5, 0x3e9e377a, v30
	v_sub_f32_e32 v31, v78, v76
	v_sub_f32_e32 v34, v81, v80
	v_fmac_f32_e32 v24, 0xbf737871, v32
	v_fmamk_f32 v30, v33, 0xbf737871, v6
	v_sub_f32_e32 v35, v76, v78
	v_sub_f32_e32 v72, v80, v81
	v_fmac_f32_e32 v6, 0x3f737871, v33
	v_add_f32_e32 v27, v27, v77
	v_add_f32_e32 v28, v28, v80
	v_fmac_f32_e32 v26, 0x3f167918, v33
	v_add_f32_e32 v31, v31, v34
	v_fmac_f32_e32 v24, 0xbf167918, v33
	v_fmac_f32_e32 v30, 0x3f167918, v32
	v_add_f32_e32 v33, v35, v72
	v_fmac_f32_e32 v6, 0xbf167918, v32
	v_add_f32_e32 v27, v27, v79
	v_add_f32_e32 v28, v28, v81
	v_fmac_f32_e32 v26, 0x3e9e377a, v31
	v_fmac_f32_e32 v24, 0x3e9e377a, v31
	v_fmac_f32_e32 v30, 0x3e9e377a, v33
	v_fmac_f32_e32 v6, 0x3e9e377a, v33
	ds_write2_b64 v143, v[11:12], v[9:10] offset1:11
	ds_write2_b64 v143, v[13:14], v[0:1] offset0:22 offset1:33
	ds_write_b64 v143, v[7:8] offset:352
	ds_write2_b64 v142, v[19:20], v[17:18] offset1:11
	ds_write2_b64 v142, v[21:22], v[90:91] offset0:22 offset1:33
	ds_write_b64 v142, v[15:16] offset:352
	;; [unrolled: 3-line block ×3, first 2 shown]
	s_waitcnt lgkmcnt(0)
	s_barrier
	buffer_gl0_inv
	ds_read2_b64 v[5:8], v138 offset0:110 offset1:165
	ds_read2_b64 v[9:12], v3 offset0:74 offset1:129
	;; [unrolled: 1-line block ×5, first 2 shown]
	ds_read2_b64 v[25:28], v138 offset1:55
	ds_read2_b64 v[29:32], v2 offset0:38 offset1:93
	ds_read_b64 v[0:1], v138 offset:6160
	s_waitcnt lgkmcnt(0)
	s_barrier
	buffer_gl0_inv
	v_mul_f32_e32 v33, v49, v8
	v_mul_f32_e32 v34, v49, v7
	;; [unrolled: 1-line block ×5, first 2 shown]
	v_fmac_f32_e32 v33, v48, v7
	v_fma_f32 v34, v48, v8, -v34
	v_mul_f32_e32 v7, v41, v15
	v_mul_f32_e32 v8, v43, v17
	v_fmac_f32_e32 v35, v50, v9
	v_fmac_f32_e32 v73, v40, v15
	v_mul_f32_e32 v74, v49, v22
	v_mul_f32_e32 v9, v49, v21
	v_fma_f32 v15, v40, v16, -v7
	v_fma_f32 v16, v42, v18, -v8
	v_mul_f32_e32 v7, v51, v11
	v_mul_f32_e32 v49, v41, v30
	;; [unrolled: 1-line block ×3, first 2 shown]
	v_fma_f32 v72, v50, v10, -v72
	v_mul_f32_e32 v10, v43, v18
	v_fmac_f32_e32 v74, v48, v21
	v_fma_f32 v48, v48, v22, -v9
	v_mul_f32_e32 v18, v43, v20
	v_fma_f32 v41, v50, v12, -v7
	v_fmac_f32_e32 v49, v40, v29
	v_fma_f32 v29, v40, v30, -v8
	v_mul_f32_e32 v7, v43, v19
	v_mul_f32_e32 v30, v45, v24
	;; [unrolled: 1-line block ×4, first 2 shown]
	v_fmac_f32_e32 v10, v42, v17
	v_fmac_f32_e32 v18, v42, v19
	v_fma_f32 v42, v42, v20, -v7
	v_fmac_f32_e32 v30, v44, v23
	v_fma_f32 v43, v44, v24, -v8
	v_fma_f32 v44, v46, v14, -v9
	v_add_f32_e32 v7, v35, v73
	v_mul_f32_e32 v45, v37, v32
	v_mul_f32_e32 v8, v37, v31
	v_add_f32_e32 v9, v25, v33
	v_mul_f32_e32 v22, v51, v12
	v_mul_f32_e32 v40, v47, v14
	;; [unrolled: 1-line block ×3, first 2 shown]
	v_fma_f32 v7, -0.5, v7, v25
	v_sub_f32_e32 v12, v34, v16
	v_fmac_f32_e32 v45, v36, v31
	v_fma_f32 v36, v36, v32, -v8
	v_add_f32_e32 v8, v9, v35
	v_add_f32_e32 v17, v33, v10
	v_fmac_f32_e32 v22, v50, v11
	v_fmac_f32_e32 v40, v46, v13
	v_fmac_f32_e32 v37, v38, v0
	v_fmamk_f32 v9, v12, 0xbf737871, v7
	v_sub_f32_e32 v14, v72, v15
	v_sub_f32_e32 v11, v33, v35
	;; [unrolled: 1-line block ×3, first 2 shown]
	v_mul_f32_e32 v19, v39, v0
	v_add_f32_e32 v8, v8, v73
	v_fma_f32 v0, -0.5, v17, v25
	v_fmac_f32_e32 v7, 0x3f737871, v12
	v_add_f32_e32 v17, v26, v34
	v_fmac_f32_e32 v9, 0xbf167918, v14
	v_add_f32_e32 v20, v11, v13
	v_fma_f32 v38, v38, v1, -v19
	v_add_f32_e32 v11, v8, v10
	v_fmamk_f32 v13, v14, 0x3f737871, v0
	v_sub_f32_e32 v1, v35, v33
	v_sub_f32_e32 v8, v73, v10
	v_fmac_f32_e32 v7, 0x3f167918, v14
	v_add_f32_e32 v19, v72, v15
	v_fmac_f32_e32 v0, 0xbf737871, v14
	v_add_f32_e32 v14, v17, v72
	v_fmac_f32_e32 v9, 0x3e9e377a, v20
	v_fmac_f32_e32 v13, 0xbf167918, v12
	v_add_f32_e32 v1, v1, v8
	v_fma_f32 v8, -0.5, v19, v26
	v_sub_f32_e32 v19, v33, v10
	v_fmac_f32_e32 v7, 0x3e9e377a, v20
	v_fmac_f32_e32 v0, 0x3f167918, v12
	v_add_f32_e32 v12, v14, v15
	v_add_f32_e32 v14, v34, v16
	v_sub_f32_e32 v20, v34, v72
	v_sub_f32_e32 v21, v16, v15
	v_fmac_f32_e32 v13, 0x3e9e377a, v1
	v_fmamk_f32 v10, v19, 0x3f737871, v8
	v_sub_f32_e32 v17, v35, v73
	v_fmac_f32_e32 v0, 0x3e9e377a, v1
	v_fma_f32 v1, -0.5, v14, v26
	v_add_f32_e32 v12, v12, v16
	v_add_f32_e32 v20, v20, v21
	v_fmac_f32_e32 v8, 0xbf737871, v19
	v_sub_f32_e32 v21, v72, v34
	v_sub_f32_e32 v15, v15, v16
	v_add_f32_e32 v16, v22, v49
	v_add_f32_e32 v23, v27, v74
	v_fmac_f32_e32 v10, 0x3f167918, v17
	v_fmamk_f32 v14, v17, 0xbf737871, v1
	v_fmac_f32_e32 v8, 0xbf167918, v17
	v_add_f32_e32 v21, v21, v15
	v_fma_f32 v15, -0.5, v16, v27
	v_sub_f32_e32 v24, v48, v42
	v_fmac_f32_e32 v1, 0x3f737871, v17
	v_add_f32_e32 v16, v23, v22
	v_add_f32_e32 v26, v74, v18
	v_fmac_f32_e32 v10, 0x3e9e377a, v20
	v_fmac_f32_e32 v14, 0x3f167918, v19
	v_fmac_f32_e32 v8, 0x3e9e377a, v20
	v_fmamk_f32 v17, v24, 0xbf737871, v15
	v_sub_f32_e32 v20, v41, v29
	v_sub_f32_e32 v23, v74, v22
	;; [unrolled: 1-line block ×3, first 2 shown]
	v_fmac_f32_e32 v1, 0xbf167918, v19
	v_add_f32_e32 v16, v16, v49
	v_fma_f32 v27, -0.5, v26, v27
	v_fmac_f32_e32 v15, 0x3f737871, v24
	v_fmac_f32_e32 v14, 0x3e9e377a, v21
	;; [unrolled: 1-line block ×3, first 2 shown]
	v_add_f32_e32 v23, v23, v25
	v_fmac_f32_e32 v1, 0x3e9e377a, v21
	v_add_f32_e32 v19, v16, v18
	v_fmamk_f32 v21, v20, 0x3f737871, v27
	v_sub_f32_e32 v16, v22, v74
	v_sub_f32_e32 v25, v49, v18
	v_fmac_f32_e32 v15, 0x3f167918, v20
	v_add_f32_e32 v26, v28, v48
	v_add_f32_e32 v31, v41, v29
	v_fmac_f32_e32 v27, 0xbf737871, v20
	v_fmac_f32_e32 v17, 0x3e9e377a, v23
	;; [unrolled: 1-line block ×3, first 2 shown]
	v_add_f32_e32 v25, v16, v25
	v_add_f32_e32 v20, v26, v41
	v_fma_f32 v16, -0.5, v31, v28
	v_sub_f32_e32 v26, v74, v18
	v_fmac_f32_e32 v15, 0x3e9e377a, v23
	v_fmac_f32_e32 v27, 0x3f167918, v24
	v_add_f32_e32 v23, v48, v42
	v_sub_f32_e32 v24, v22, v49
	v_sub_f32_e32 v22, v48, v41
	;; [unrolled: 1-line block ×3, first 2 shown]
	v_fmac_f32_e32 v21, 0x3e9e377a, v25
	v_add_f32_e32 v20, v20, v29
	v_fmamk_f32 v18, v26, 0x3f737871, v16
	v_fmac_f32_e32 v27, 0x3e9e377a, v25
	v_fmac_f32_e32 v28, -0.5, v23
	v_add_f32_e32 v25, v22, v31
	v_fmac_f32_e32 v16, 0xbf737871, v26
	v_sub_f32_e32 v23, v41, v48
	v_sub_f32_e32 v29, v29, v42
	v_add_f32_e32 v31, v40, v45
	v_fmac_f32_e32 v18, 0x3f167918, v24
	v_fmamk_f32 v22, v24, 0xbf737871, v28
	v_fmac_f32_e32 v16, 0xbf167918, v24
	v_add_f32_e32 v29, v23, v29
	v_fmac_f32_e32 v28, 0x3f737871, v24
	v_add_f32_e32 v24, v5, v30
	v_fma_f32 v23, -0.5, v31, v5
	v_sub_f32_e32 v32, v43, v38
	v_fmac_f32_e32 v18, 0x3e9e377a, v25
	v_fmac_f32_e32 v22, 0x3f167918, v26
	v_fmac_f32_e32 v16, 0x3e9e377a, v25
	v_fmac_f32_e32 v28, 0xbf167918, v26
	v_add_f32_e32 v24, v24, v40
	v_fmamk_f32 v25, v32, 0xbf737871, v23
	v_sub_f32_e32 v26, v44, v36
	v_sub_f32_e32 v31, v30, v40
	;; [unrolled: 1-line block ×3, first 2 shown]
	v_fmac_f32_e32 v23, 0x3f737871, v32
	v_add_f32_e32 v34, v30, v37
	v_add_f32_e32 v24, v24, v45
	v_fmac_f32_e32 v25, 0xbf167918, v26
	v_add_f32_e32 v31, v31, v33
	v_fmac_f32_e32 v23, 0x3f167918, v26
	v_fma_f32 v5, -0.5, v34, v5
	v_sub_f32_e32 v33, v40, v30
	v_sub_f32_e32 v34, v45, v37
	v_fmac_f32_e32 v22, 0x3e9e377a, v29
	v_fmac_f32_e32 v28, 0x3e9e377a, v29
	v_add_f32_e32 v29, v24, v37
	v_fmac_f32_e32 v25, 0x3e9e377a, v31
	v_fmac_f32_e32 v23, 0x3e9e377a, v31
	v_fmamk_f32 v31, v26, 0x3f737871, v5
	v_add_f32_e32 v24, v44, v36
	v_fmac_f32_e32 v5, 0xbf737871, v26
	v_add_f32_e32 v26, v6, v43
	v_add_f32_e32 v33, v33, v34
	;; [unrolled: 1-line block ×3, first 2 shown]
	v_fma_f32 v24, -0.5, v24, v6
	v_sub_f32_e32 v30, v30, v37
	v_fmac_f32_e32 v31, 0xbf167918, v32
	v_fmac_f32_e32 v5, 0x3f167918, v32
	v_add_f32_e32 v32, v26, v44
	v_sub_f32_e32 v35, v40, v45
	v_fmac_f32_e32 v6, -0.5, v34
	v_fmamk_f32 v26, v30, 0x3f737871, v24
	v_fmac_f32_e32 v31, 0x3e9e377a, v33
	v_fmac_f32_e32 v5, 0x3e9e377a, v33
	v_add_f32_e32 v33, v32, v36
	v_sub_f32_e32 v34, v43, v44
	v_sub_f32_e32 v37, v38, v36
	v_fmac_f32_e32 v24, 0xbf737871, v30
	v_fmamk_f32 v32, v35, 0xbf737871, v6
	v_sub_f32_e32 v39, v44, v43
	v_sub_f32_e32 v36, v36, v38
	v_fmac_f32_e32 v6, 0x3f737871, v35
	v_fmac_f32_e32 v26, 0x3f167918, v35
	v_add_f32_e32 v34, v34, v37
	v_fmac_f32_e32 v24, 0xbf167918, v35
	v_add_f32_e32 v35, v39, v36
	v_fmac_f32_e32 v6, 0xbf167918, v30
	v_fmac_f32_e32 v32, 0x3f167918, v30
	v_add_f32_e32 v20, v20, v42
	v_add_f32_e32 v30, v33, v38
	v_fmac_f32_e32 v26, 0x3e9e377a, v34
	v_fmac_f32_e32 v24, 0x3e9e377a, v34
	;; [unrolled: 1-line block ×3, first 2 shown]
	ds_write2_b64 v138, v[11:12], v[9:10] offset1:55
	v_add_nc_u32_e32 v9, 0x1000, v145
	v_fmac_f32_e32 v32, 0x3e9e377a, v35
	ds_write2_b64 v138, v[13:14], v[0:1] offset0:110 offset1:165
	ds_write2_b64 v4, v[7:8], v[19:20] offset0:92 offset1:147
	;; [unrolled: 1-line block ×6, first 2 shown]
	ds_write_b64 v145, v[23:24] offset:6160
	s_waitcnt lgkmcnt(0)
	s_barrier
	buffer_gl0_inv
	ds_read2_b64 v[5:8], v4 offset0:92 offset1:147
	ds_read2_b64 v[9:12], v2 offset0:38 offset1:93
	;; [unrolled: 1-line block ×3, first 2 shown]
	ds_read2_b64 v[17:20], v138 offset1:55
	ds_read2_b64 v[21:24], v138 offset0:110 offset1:165
	ds_read2_b64 v[25:28], v2 offset0:148 offset1:203
	;; [unrolled: 1-line block ×3, first 2 shown]
	ds_read_b64 v[0:1], v138 offset:6160
	s_waitcnt lgkmcnt(7)
	v_mul_f32_e32 v33, v69, v8
	v_mul_f32_e32 v34, v69, v7
	s_waitcnt lgkmcnt(6)
	v_mul_f32_e32 v35, v71, v10
	v_mul_f32_e32 v36, v67, v12
	s_waitcnt lgkmcnt(5)
	v_mul_f32_e32 v37, v61, v16
	v_fmac_f32_e32 v33, v68, v7
	v_mul_f32_e32 v7, v71, v9
	v_fma_f32 v8, v68, v8, -v34
	v_mul_f32_e32 v34, v65, v14
	v_fmac_f32_e32 v35, v70, v9
	v_mul_f32_e32 v9, v65, v13
	v_fma_f32 v10, v70, v10, -v7
	v_mul_f32_e32 v7, v67, v11
	v_fmac_f32_e32 v34, v64, v13
	s_waitcnt lgkmcnt(2)
	v_mul_f32_e32 v38, v63, v26
	v_fma_f32 v13, v64, v14, -v9
	v_mul_f32_e32 v9, v61, v15
	v_fma_f32 v12, v66, v12, -v7
	v_mul_f32_e32 v7, v63, v25
	s_waitcnt lgkmcnt(1)
	v_mul_f32_e32 v39, v57, v30
	v_fmac_f32_e32 v38, v62, v25
	v_fma_f32 v16, v60, v16, -v9
	v_mul_f32_e32 v9, v57, v29
	v_fma_f32 v25, v62, v26, -v7
	v_mul_f32_e32 v7, v59, v27
	v_mul_f32_e32 v26, v59, v28
	v_fmac_f32_e32 v39, v56, v29
	v_fma_f32 v29, v56, v30, -v9
	v_mul_f32_e32 v30, v53, v32
	v_mul_f32_e32 v9, v53, v31
	v_fma_f32 v28, v58, v28, -v7
	s_waitcnt lgkmcnt(0)
	v_mul_f32_e32 v7, v55, v0
	v_fmac_f32_e32 v36, v66, v11
	v_mul_f32_e32 v40, v55, v1
	v_fmac_f32_e32 v30, v52, v31
	v_fma_f32 v31, v52, v32, -v9
	v_add_f32_e32 v9, v33, v35
	v_add_f32_e32 v11, v17, v33
	v_fma_f32 v32, v54, v1, -v7
	v_add_f32_e32 v1, v8, v10
	v_fmac_f32_e32 v37, v60, v15
	v_fmac_f32_e32 v40, v54, v0
	v_fma_f32 v0, -0.5, v9, v17
	v_sub_f32_e32 v14, v8, v10
	v_add_f32_e32 v7, v11, v35
	v_add_f32_e32 v8, v18, v8
	v_fma_f32 v1, -0.5, v1, v18
	v_sub_f32_e32 v11, v33, v35
	v_add_f32_e32 v15, v19, v34
	v_fmamk_f32 v9, v14, 0xbf5db3d7, v0
	v_fmac_f32_e32 v0, 0x3f5db3d7, v14
	v_add_f32_e32 v8, v8, v10
	v_add_f32_e32 v14, v34, v36
	v_fmamk_f32 v10, v11, 0x3f5db3d7, v1
	v_fmac_f32_e32 v1, 0xbf5db3d7, v11
	v_add_f32_e32 v17, v13, v12
	v_add_f32_e32 v11, v15, v36
	;; [unrolled: 1-line block ×3, first 2 shown]
	v_fmac_f32_e32 v26, v58, v27
	v_fma_f32 v19, -0.5, v14, v19
	v_sub_f32_e32 v14, v13, v12
	v_fmac_f32_e32 v20, -0.5, v17
	v_sub_f32_e32 v17, v34, v36
	v_add_f32_e32 v12, v15, v12
	v_add_f32_e32 v15, v37, v38
	;; [unrolled: 1-line block ×4, first 2 shown]
	v_fmamk_f32 v13, v14, 0xbf5db3d7, v19
	v_fmac_f32_e32 v19, 0x3f5db3d7, v14
	v_fmamk_f32 v14, v17, 0x3f5db3d7, v20
	v_fmac_f32_e32 v20, 0xbf5db3d7, v17
	v_fma_f32 v15, -0.5, v15, v21
	v_sub_f32_e32 v33, v16, v25
	v_add_f32_e32 v17, v18, v38
	v_add_f32_e32 v18, v22, v16
	v_fma_f32 v16, -0.5, v27, v22
	v_sub_f32_e32 v27, v37, v38
	v_fmamk_f32 v21, v33, 0xbf5db3d7, v15
	v_fmac_f32_e32 v15, 0x3f5db3d7, v33
	v_add_f32_e32 v18, v18, v25
	v_add_f32_e32 v25, v39, v26
	v_fmamk_f32 v22, v27, 0x3f5db3d7, v16
	v_add_f32_e32 v33, v23, v39
	v_fmac_f32_e32 v16, 0xbf5db3d7, v27
	v_add_f32_e32 v27, v29, v28
	v_fma_f32 v23, -0.5, v25, v23
	v_sub_f32_e32 v34, v29, v28
	v_add_f32_e32 v25, v33, v26
	v_add_f32_e32 v29, v24, v29
	v_fmac_f32_e32 v24, -0.5, v27
	v_sub_f32_e32 v33, v39, v26
	v_fmamk_f32 v27, v34, 0xbf5db3d7, v23
	v_fmac_f32_e32 v23, 0x3f5db3d7, v34
	v_add_f32_e32 v26, v29, v28
	v_add_f32_e32 v29, v30, v40
	v_fmamk_f32 v28, v33, 0x3f5db3d7, v24
	v_fmac_f32_e32 v24, 0xbf5db3d7, v33
	v_add_f32_e32 v33, v31, v32
	v_add_f32_e32 v34, v5, v30
	v_fma_f32 v5, -0.5, v29, v5
	v_sub_f32_e32 v35, v31, v32
	v_add_f32_e32 v36, v6, v31
	v_fmac_f32_e32 v6, -0.5, v33
	v_sub_f32_e32 v33, v30, v40
	v_add_f32_e32 v29, v34, v40
	v_fmamk_f32 v31, v35, 0xbf5db3d7, v5
	v_fmac_f32_e32 v5, 0x3f5db3d7, v35
	v_add_f32_e32 v30, v36, v32
	v_fmamk_f32 v32, v33, 0x3f5db3d7, v6
	v_fmac_f32_e32 v6, 0xbf5db3d7, v33
	ds_write_b64 v138, v[9:10] offset:2200
	ds_write_b64 v138, v[0:1] offset:4400
	ds_write2_b64 v138, v[7:8], v[11:12] offset1:55
	ds_write2_b64 v3, v[13:14], v[21:22] offset0:74 offset1:129
	ds_write2_b64 v2, v[19:20], v[15:16] offset0:93 offset1:148
	;; [unrolled: 1-line block ×3, first 2 shown]
	ds_write_b64 v138, v[23:24] offset:5720
	ds_write_b64 v138, v[29:30] offset:1760
	ds_write2_b64 v3, v[27:28], v[31:32] offset0:184 offset1:239
	ds_write_b64 v138, v[5:6] offset:6160
	s_waitcnt lgkmcnt(0)
	s_barrier
	buffer_gl0_inv
	ds_read2_b64 v[5:8], v138 offset1:75
	ds_read2_b64 v[9:12], v138 offset0:150 offset1:225
	v_mad_u64_u32 v[13:14], null, s10, v117, 0
	v_mad_u64_u32 v[17:18], null, s8, v139, 0
	s_waitcnt lgkmcnt(1)
	v_mul_f32_e32 v0, v133, v6
	v_mul_f32_e32 v15, v127, v8
	s_waitcnt lgkmcnt(0)
	v_mul_f32_e32 v21, v129, v9
	v_fmac_f32_e32 v0, v132, v5
	v_mul_f32_e32 v5, v133, v5
	v_fmac_f32_e32 v15, v126, v7
	v_mul_f32_e32 v7, v127, v7
	v_cvt_f64_f32_e32 v[0:1], v0
	v_fma_f32 v5, v132, v6, -v5
	v_cvt_f64_f32_e32 v[15:16], v15
	v_fma_f32 v7, v126, v8, -v7
	v_mul_f32_e32 v8, v129, v10
	v_cvt_f64_f32_e32 v[5:6], v5
	v_fmac_f32_e32 v8, v128, v9
	v_mul_f64 v[0:1], v[0:1], s[4:5]
	v_mad_u64_u32 v[19:20], null, s11, v117, v[14:15]
	v_mul_f64 v[15:16], v[15:16], s[4:5]
	v_mul_f64 v[5:6], v[5:6], s[4:5]
	v_mov_b32_e32 v14, v19
	v_mad_u64_u32 v[18:19], null, s9, v139, v[18:19]
	v_cvt_f64_f32_e32 v[19:20], v7
	v_lshlrev_b64 v[17:18], 3, v[17:18]
	v_cvt_f32_f64_e32 v0, v[0:1]
	v_cvt_f32_f64_e32 v1, v[5:6]
	v_fma_f32 v5, v128, v10, -v21
	v_lshlrev_b64 v[9:10], 3, v[13:14]
	v_cvt_f64_f32_e32 v[13:14], v8
	v_cvt_f64_f32_e32 v[21:22], v5
	ds_read2_b64 v[5:8], v3 offset0:44 offset1:119
	v_add_co_u32 v9, s0, s2, v9
	v_add_co_ci_u32_e64 v10, s0, s3, v10, s0
	v_add_co_u32 v17, s0, v9, v17
	v_add_co_ci_u32_e64 v18, s0, v10, v18, s0
	v_mul_f64 v[9:10], v[19:20], s[4:5]
	v_mul_f32_e32 v19, v125, v11
	s_mul_i32 s0, s9, 0x4b
	s_add_i32 s1, s1, s0
	global_store_dwordx2 v[17:18], v[0:1], off
	v_mul_f32_e32 v1, v125, v12
	v_cvt_f32_f64_e32 v0, v[15:16]
	v_mul_f64 v[13:14], v[13:14], s[4:5]
	v_fma_f32 v12, v124, v12, -v19
	s_waitcnt lgkmcnt(0)
	v_mul_f32_e32 v31, v123, v8
	v_mul_f64 v[15:16], v[21:22], s[4:5]
	v_fmac_f32_e32 v1, v124, v11
	v_mul_f32_e32 v11, v131, v6
	v_mul_f32_e32 v21, v131, v5
	;; [unrolled: 1-line block ×3, first 2 shown]
	v_fmac_f32_e32 v31, v122, v7
	v_cvt_f64_f32_e32 v[19:20], v1
	v_fmac_f32_e32 v11, v130, v5
	v_fma_f32 v1, v130, v6, -v21
	v_cvt_f64_f32_e32 v[21:22], v12
	v_add_nc_u32_e32 v5, 0xc00, v138
	v_fma_f32 v8, v122, v8, -v32
	v_cvt_f64_f32_e32 v[23:24], v11
	v_cvt_f64_f32_e32 v[25:26], v1
	v_cvt_f32_f64_e32 v1, v[9:10]
	ds_read2_b64 v[9:12], v5 offset0:66 offset1:141
	v_cvt_f64_f32_e32 v[33:34], v8
	s_mul_i32 s0, s8, 0x4b
	v_cvt_f32_f64_e32 v27, v[13:14]
	s_lshl_b64 s[2:3], s[0:1], 3
	v_cvt_f32_f64_e32 v28, v[15:16]
	ds_read2_b64 v[13:16], v2 offset0:88 offset1:163
	v_add_co_u32 v17, s0, v17, s2
	v_add_co_ci_u32_e64 v18, s0, s3, v18, s0
	v_mul_f64 v[19:20], v[19:20], s[4:5]
	v_add_co_u32 v29, s0, v17, s2
	v_mul_f64 v[6:7], v[21:22], s[4:5]
	v_add_co_ci_u32_e64 v30, s0, s3, v18, s0
	v_mul_f64 v[21:22], v[23:24], s[4:5]
	v_mul_f64 v[23:24], v[25:26], s[4:5]
	v_cvt_f64_f32_e32 v[25:26], v31
	ds_read_b64 v[31:32], v138 offset:6000
	s_waitcnt lgkmcnt(2)
	v_mul_f32_e32 v37, v114, v11
	v_mul_f32_e32 v8, v112, v10
	;; [unrolled: 1-line block ×4, first 2 shown]
	global_store_dwordx2 v[17:18], v[0:1], off
	global_store_dwordx2 v[29:30], v[27:28], off
	v_fma_f32 v12, v113, v12, -v37
	s_waitcnt lgkmcnt(1)
	v_mul_f32_e32 v39, v116, v14
	v_fmac_f32_e32 v8, v111, v9
	v_fma_f32 v10, v111, v10, -v35
	v_mul_f32_e32 v41, v119, v16
	v_cvt_f64_f32_e32 v[37:38], v12
	v_mul_f32_e32 v12, v116, v13
	v_fmac_f32_e32 v39, v115, v13
	v_mul_f32_e32 v13, v119, v15
	v_fmac_f32_e32 v36, v113, v11
	v_cvt_f64_f32_e32 v[8:9], v8
	v_cvt_f64_f32_e32 v[10:11], v10
	v_fma_f32 v12, v115, v14, -v12
	s_waitcnt lgkmcnt(0)
	v_mul_f32_e32 v42, v121, v32
	v_mul_f32_e32 v43, v121, v31
	v_fmac_f32_e32 v41, v118, v15
	v_fma_f32 v16, v118, v16, -v13
	v_cvt_f64_f32_e32 v[35:36], v36
	v_fmac_f32_e32 v42, v120, v31
	v_fma_f32 v43, v120, v32, -v43
	v_cvt_f64_f32_e32 v[39:40], v39
	v_cvt_f64_f32_e32 v[12:13], v12
	;; [unrolled: 1-line block ×6, first 2 shown]
	v_cvt_f32_f64_e32 v1, v[6:7]
	v_mul_f64 v[6:7], v[25:26], s[4:5]
	v_mul_f64 v[16:17], v[33:34], s[4:5]
	v_cvt_f32_f64_e32 v0, v[19:20]
	v_cvt_f32_f64_e32 v20, v[21:22]
	v_cvt_f32_f64_e32 v21, v[23:24]
	v_mul_f64 v[8:9], v[8:9], s[4:5]
	v_mul_f64 v[10:11], v[10:11], s[4:5]
	;; [unrolled: 1-line block ×3, first 2 shown]
	v_add_co_u32 v18, s0, v29, s2
	v_add_co_ci_u32_e64 v19, s0, s3, v30, s0
	v_mul_f64 v[22:23], v[35:36], s[4:5]
	v_add_co_u32 v34, s0, v18, s2
	v_mul_f64 v[26:27], v[39:40], s[4:5]
	v_mul_f64 v[12:13], v[12:13], s[4:5]
	;; [unrolled: 1-line block ×6, first 2 shown]
	v_add_co_ci_u32_e64 v35, s0, s3, v19, s0
	v_cvt_f32_f64_e32 v6, v[6:7]
	v_cvt_f32_f64_e32 v7, v[16:17]
	v_add_co_u32 v16, s0, v34, s2
	v_add_co_ci_u32_e64 v17, s0, s3, v35, s0
	v_cvt_f32_f64_e32 v8, v[8:9]
	v_cvt_f32_f64_e32 v9, v[10:11]
	v_add_co_u32 v10, s0, v16, s2
	v_add_co_ci_u32_e64 v11, s0, s3, v17, s0
	v_cvt_f32_f64_e32 v22, v[22:23]
	v_cvt_f32_f64_e32 v23, v[24:25]
	;; [unrolled: 1-line block ×3, first 2 shown]
	v_add_co_u32 v26, s0, v10, s2
	v_cvt_f32_f64_e32 v25, v[12:13]
	v_add_co_ci_u32_e64 v27, s0, s3, v11, s0
	v_cvt_f32_f64_e32 v12, v[14:15]
	v_cvt_f32_f64_e32 v13, v[28:29]
	;; [unrolled: 1-line block ×4, first 2 shown]
	global_store_dwordx2 v[18:19], v[0:1], off
	v_add_co_u32 v18, s0, v26, s2
	v_add_co_ci_u32_e64 v19, s0, s3, v27, s0
	global_store_dwordx2 v[34:35], v[20:21], off
	v_add_co_u32 v20, s0, v18, s2
	v_add_co_ci_u32_e64 v21, s0, s3, v19, s0
	;; [unrolled: 3-line block ×3, first 2 shown]
	global_store_dwordx2 v[10:11], v[8:9], off
	global_store_dwordx2 v[26:27], v[22:23], off
	;; [unrolled: 1-line block ×5, first 2 shown]
	s_and_b32 exec_lo, exec_lo, vcc_lo
	s_cbranch_execz .LBB0_15
; %bb.14:
	global_load_dwordx2 v[10:11], v[109:110], off offset:440
	ds_read2_b64 v[6:9], v138 offset0:55 offset1:130
	v_mad_u64_u32 v[0:1], null, 0xffffea48, s8, v[0:1]
	s_mul_i32 s0, s9, 0xffffea48
	s_sub_i32 s0, s0, s8
	v_add_nc_u32_e32 v1, s0, v1
	s_waitcnt vmcnt(0) lgkmcnt(0)
	v_mul_f32_e32 v12, v7, v11
	v_mul_f32_e32 v11, v6, v11
	v_fmac_f32_e32 v12, v6, v10
	v_fma_f32 v10, v10, v7, -v11
	v_cvt_f64_f32_e32 v[6:7], v12
	v_cvt_f64_f32_e32 v[10:11], v10
	v_mul_f64 v[6:7], v[6:7], s[4:5]
	v_mul_f64 v[10:11], v[10:11], s[4:5]
	v_cvt_f32_f64_e32 v6, v[6:7]
	v_cvt_f32_f64_e32 v7, v[10:11]
	global_store_dwordx2 v[0:1], v[6:7], off
	global_load_dwordx2 v[6:7], v[109:110], off offset:1040
	v_add_co_u32 v0, vcc_lo, v0, s2
	v_add_co_ci_u32_e32 v1, vcc_lo, s3, v1, vcc_lo
	s_waitcnt vmcnt(0)
	v_mul_f32_e32 v10, v9, v7
	v_mul_f32_e32 v7, v8, v7
	v_fmac_f32_e32 v10, v8, v6
	v_fma_f32 v8, v6, v9, -v7
	v_cvt_f64_f32_e32 v[6:7], v10
	v_cvt_f64_f32_e32 v[8:9], v8
	v_mul_f64 v[6:7], v[6:7], s[4:5]
	v_mul_f64 v[8:9], v[8:9], s[4:5]
	v_cvt_f32_f64_e32 v6, v[6:7]
	v_cvt_f32_f64_e32 v7, v[8:9]
	global_store_dwordx2 v[0:1], v[6:7], off
	global_load_dwordx2 v[10:11], v[109:110], off offset:1640
	ds_read2_b64 v[6:9], v4 offset0:77 offset1:152
	v_add_co_u32 v0, vcc_lo, v0, s2
	v_add_co_ci_u32_e32 v1, vcc_lo, s3, v1, vcc_lo
	s_waitcnt vmcnt(0) lgkmcnt(0)
	v_mul_f32_e32 v4, v7, v11
	v_mul_f32_e32 v11, v6, v11
	v_fmac_f32_e32 v4, v6, v10
	v_fma_f32 v10, v10, v7, -v11
	v_cvt_f64_f32_e32 v[6:7], v4
	v_cvt_f64_f32_e32 v[10:11], v10
	v_mul_f64 v[6:7], v[6:7], s[4:5]
	v_mul_f64 v[10:11], v[10:11], s[4:5]
	v_cvt_f32_f64_e32 v6, v[6:7]
	v_cvt_f32_f64_e32 v7, v[10:11]
	global_store_dwordx2 v[0:1], v[6:7], off
	global_load_dwordx2 v[6:7], v[107:108], off offset:192
	v_add_co_u32 v0, vcc_lo, v0, s2
	v_add_co_ci_u32_e32 v1, vcc_lo, s3, v1, vcc_lo
	s_waitcnt vmcnt(0)
	v_mul_f32_e32 v4, v9, v7
	v_mul_f32_e32 v7, v8, v7
	v_fmac_f32_e32 v4, v8, v6
	v_fma_f32 v8, v6, v9, -v7
	v_cvt_f64_f32_e32 v[6:7], v4
	v_cvt_f64_f32_e32 v[8:9], v8
	v_mul_f64 v[6:7], v[6:7], s[4:5]
	v_mul_f64 v[8:9], v[8:9], s[4:5]
	v_cvt_f32_f64_e32 v6, v[6:7]
	v_cvt_f32_f64_e32 v7, v[8:9]
	global_store_dwordx2 v[0:1], v[6:7], off
	global_load_dwordx2 v[10:11], v[107:108], off offset:792
	ds_read2_b64 v[6:9], v3 offset0:99 offset1:174
	v_add_co_u32 v0, vcc_lo, v0, s2
	v_add_co_ci_u32_e32 v1, vcc_lo, s3, v1, vcc_lo
	;; [unrolled: 31-line block ×3, first 2 shown]
	s_waitcnt vmcnt(0) lgkmcnt(0)
	v_mul_f32_e32 v9, v4, v8
	v_mul_f32_e32 v8, v3, v8
	v_fmac_f32_e32 v9, v3, v7
	v_fma_f32 v7, v7, v4, -v8
	v_cvt_f64_f32_e32 v[3:4], v9
	v_cvt_f64_f32_e32 v[7:8], v7
	v_mul_f64 v[3:4], v[3:4], s[4:5]
	v_mul_f64 v[7:8], v[7:8], s[4:5]
	v_cvt_f32_f64_e32 v3, v[3:4]
	v_cvt_f32_f64_e32 v4, v[7:8]
	global_store_dwordx2 v[0:1], v[3:4], off
	global_load_dwordx2 v[3:4], v[105:106], off offset:544
	s_waitcnt vmcnt(0)
	v_mul_f32_e32 v7, v6, v4
	v_mul_f32_e32 v4, v5, v4
	v_fmac_f32_e32 v7, v5, v3
	v_fma_f32 v5, v3, v6, -v4
	v_cvt_f64_f32_e32 v[3:4], v7
	v_cvt_f64_f32_e32 v[5:6], v5
	v_mul_f64 v[3:4], v[3:4], s[4:5]
	v_mul_f64 v[5:6], v[5:6], s[4:5]
	v_cvt_f32_f64_e32 v3, v[3:4]
	v_cvt_f32_f64_e32 v4, v[5:6]
	v_add_co_u32 v5, vcc_lo, v0, s2
	v_add_co_ci_u32_e32 v6, vcc_lo, s3, v1, vcc_lo
	global_store_dwordx2 v[5:6], v[3:4], off
	global_load_dwordx2 v[7:8], v[105:106], off offset:1144
	ds_read2_b64 v[0:3], v2 offset0:143 offset1:218
	s_waitcnt vmcnt(0) lgkmcnt(0)
	v_mul_f32_e32 v4, v1, v8
	v_mul_f32_e32 v8, v0, v8
	v_fmac_f32_e32 v4, v0, v7
	v_fma_f32 v7, v7, v1, -v8
	v_cvt_f64_f32_e32 v[0:1], v4
	v_cvt_f64_f32_e32 v[7:8], v7
	v_add_co_u32 v4, vcc_lo, v5, s2
	v_add_co_ci_u32_e32 v5, vcc_lo, s3, v6, vcc_lo
	v_mul_f64 v[0:1], v[0:1], s[4:5]
	v_mul_f64 v[7:8], v[7:8], s[4:5]
	v_cvt_f32_f64_e32 v0, v[0:1]
	v_cvt_f32_f64_e32 v1, v[7:8]
	global_store_dwordx2 v[4:5], v[0:1], off
	global_load_dwordx2 v[0:1], v[105:106], off offset:1744
	s_waitcnt vmcnt(0)
	v_mul_f32_e32 v6, v3, v1
	v_mul_f32_e32 v1, v2, v1
	v_fmac_f32_e32 v6, v2, v0
	v_fma_f32 v2, v0, v3, -v1
	v_cvt_f64_f32_e32 v[0:1], v6
	v_cvt_f64_f32_e32 v[2:3], v2
	v_mul_f64 v[0:1], v[0:1], s[4:5]
	v_mul_f64 v[2:3], v[2:3], s[4:5]
	v_cvt_f32_f64_e32 v0, v[0:1]
	v_cvt_f32_f64_e32 v1, v[2:3]
	v_add_co_u32 v2, vcc_lo, v4, s2
	v_add_co_ci_u32_e32 v3, vcc_lo, s3, v5, vcc_lo
	ds_read_b64 v[4:5], v138 offset:6440
	global_store_dwordx2 v[2:3], v[0:1], off
	global_load_dwordx2 v[0:1], v[134:135], off offset:296
	v_add_co_u32 v2, vcc_lo, v2, s2
	v_add_co_ci_u32_e32 v3, vcc_lo, s3, v3, vcc_lo
	s_waitcnt vmcnt(0) lgkmcnt(0)
	v_mul_f32_e32 v6, v5, v1
	v_mul_f32_e32 v1, v4, v1
	v_fmac_f32_e32 v6, v4, v0
	v_fma_f32 v4, v0, v5, -v1
	v_cvt_f64_f32_e32 v[0:1], v6
	v_cvt_f64_f32_e32 v[4:5], v4
	v_mul_f64 v[0:1], v[0:1], s[4:5]
	v_mul_f64 v[4:5], v[4:5], s[4:5]
	v_cvt_f32_f64_e32 v0, v[0:1]
	v_cvt_f32_f64_e32 v1, v[4:5]
	global_store_dwordx2 v[2:3], v[0:1], off
.LBB0_15:
	s_endpgm
	.section	.rodata,"a",@progbits
	.p2align	6, 0x0
	.amdhsa_kernel bluestein_single_fwd_len825_dim1_sp_op_CI_CI
		.amdhsa_group_segment_fixed_size 6600
		.amdhsa_private_segment_fixed_size 0
		.amdhsa_kernarg_size 104
		.amdhsa_user_sgpr_count 6
		.amdhsa_user_sgpr_private_segment_buffer 1
		.amdhsa_user_sgpr_dispatch_ptr 0
		.amdhsa_user_sgpr_queue_ptr 0
		.amdhsa_user_sgpr_kernarg_segment_ptr 1
		.amdhsa_user_sgpr_dispatch_id 0
		.amdhsa_user_sgpr_flat_scratch_init 0
		.amdhsa_user_sgpr_private_segment_size 0
		.amdhsa_wavefront_size32 1
		.amdhsa_uses_dynamic_stack 0
		.amdhsa_system_sgpr_private_segment_wavefront_offset 0
		.amdhsa_system_sgpr_workgroup_id_x 1
		.amdhsa_system_sgpr_workgroup_id_y 0
		.amdhsa_system_sgpr_workgroup_id_z 0
		.amdhsa_system_sgpr_workgroup_info 0
		.amdhsa_system_vgpr_workitem_id 0
		.amdhsa_next_free_vgpr 195
		.amdhsa_next_free_sgpr 16
		.amdhsa_reserve_vcc 1
		.amdhsa_reserve_flat_scratch 0
		.amdhsa_float_round_mode_32 0
		.amdhsa_float_round_mode_16_64 0
		.amdhsa_float_denorm_mode_32 3
		.amdhsa_float_denorm_mode_16_64 3
		.amdhsa_dx10_clamp 1
		.amdhsa_ieee_mode 1
		.amdhsa_fp16_overflow 0
		.amdhsa_workgroup_processor_mode 1
		.amdhsa_memory_ordered 1
		.amdhsa_forward_progress 0
		.amdhsa_shared_vgpr_count 0
		.amdhsa_exception_fp_ieee_invalid_op 0
		.amdhsa_exception_fp_denorm_src 0
		.amdhsa_exception_fp_ieee_div_zero 0
		.amdhsa_exception_fp_ieee_overflow 0
		.amdhsa_exception_fp_ieee_underflow 0
		.amdhsa_exception_fp_ieee_inexact 0
		.amdhsa_exception_int_div_zero 0
	.end_amdhsa_kernel
	.text
.Lfunc_end0:
	.size	bluestein_single_fwd_len825_dim1_sp_op_CI_CI, .Lfunc_end0-bluestein_single_fwd_len825_dim1_sp_op_CI_CI
                                        ; -- End function
	.section	.AMDGPU.csdata,"",@progbits
; Kernel info:
; codeLenInByte = 21196
; NumSgprs: 18
; NumVgprs: 195
; ScratchSize: 0
; MemoryBound: 0
; FloatMode: 240
; IeeeMode: 1
; LDSByteSize: 6600 bytes/workgroup (compile time only)
; SGPRBlocks: 2
; VGPRBlocks: 24
; NumSGPRsForWavesPerEU: 18
; NumVGPRsForWavesPerEU: 195
; Occupancy: 4
; WaveLimiterHint : 1
; COMPUTE_PGM_RSRC2:SCRATCH_EN: 0
; COMPUTE_PGM_RSRC2:USER_SGPR: 6
; COMPUTE_PGM_RSRC2:TRAP_HANDLER: 0
; COMPUTE_PGM_RSRC2:TGID_X_EN: 1
; COMPUTE_PGM_RSRC2:TGID_Y_EN: 0
; COMPUTE_PGM_RSRC2:TGID_Z_EN: 0
; COMPUTE_PGM_RSRC2:TIDIG_COMP_CNT: 0
	.text
	.p2alignl 6, 3214868480
	.fill 48, 4, 3214868480
	.type	__hip_cuid_225ff85a6426609c,@object ; @__hip_cuid_225ff85a6426609c
	.section	.bss,"aw",@nobits
	.globl	__hip_cuid_225ff85a6426609c
__hip_cuid_225ff85a6426609c:
	.byte	0                               ; 0x0
	.size	__hip_cuid_225ff85a6426609c, 1

	.ident	"AMD clang version 19.0.0git (https://github.com/RadeonOpenCompute/llvm-project roc-6.4.0 25133 c7fe45cf4b819c5991fe208aaa96edf142730f1d)"
	.section	".note.GNU-stack","",@progbits
	.addrsig
	.addrsig_sym __hip_cuid_225ff85a6426609c
	.amdgpu_metadata
---
amdhsa.kernels:
  - .args:
      - .actual_access:  read_only
        .address_space:  global
        .offset:         0
        .size:           8
        .value_kind:     global_buffer
      - .actual_access:  read_only
        .address_space:  global
        .offset:         8
        .size:           8
        .value_kind:     global_buffer
      - .actual_access:  read_only
        .address_space:  global
        .offset:         16
        .size:           8
        .value_kind:     global_buffer
      - .actual_access:  read_only
        .address_space:  global
        .offset:         24
        .size:           8
        .value_kind:     global_buffer
      - .actual_access:  read_only
        .address_space:  global
        .offset:         32
        .size:           8
        .value_kind:     global_buffer
      - .offset:         40
        .size:           8
        .value_kind:     by_value
      - .address_space:  global
        .offset:         48
        .size:           8
        .value_kind:     global_buffer
      - .address_space:  global
        .offset:         56
        .size:           8
        .value_kind:     global_buffer
      - .address_space:  global
        .offset:         64
        .size:           8
        .value_kind:     global_buffer
      - .address_space:  global
        .offset:         72
        .size:           8
        .value_kind:     global_buffer
      - .offset:         80
        .size:           4
        .value_kind:     by_value
      - .address_space:  global
        .offset:         88
        .size:           8
        .value_kind:     global_buffer
      - .address_space:  global
        .offset:         96
        .size:           8
        .value_kind:     global_buffer
    .group_segment_fixed_size: 6600
    .kernarg_segment_align: 8
    .kernarg_segment_size: 104
    .language:       OpenCL C
    .language_version:
      - 2
      - 0
    .max_flat_workgroup_size: 55
    .name:           bluestein_single_fwd_len825_dim1_sp_op_CI_CI
    .private_segment_fixed_size: 0
    .sgpr_count:     18
    .sgpr_spill_count: 0
    .symbol:         bluestein_single_fwd_len825_dim1_sp_op_CI_CI.kd
    .uniform_work_group_size: 1
    .uses_dynamic_stack: false
    .vgpr_count:     195
    .vgpr_spill_count: 0
    .wavefront_size: 32
    .workgroup_processor_mode: 1
amdhsa.target:   amdgcn-amd-amdhsa--gfx1030
amdhsa.version:
  - 1
  - 2
...

	.end_amdgpu_metadata
